;; amdgpu-corpus repo=ROCm/rocFFT kind=compiled arch=gfx906 opt=O3
	.text
	.amdgcn_target "amdgcn-amd-amdhsa--gfx906"
	.amdhsa_code_object_version 6
	.protected	fft_rtc_back_len1638_factors_13_2_3_7_3_wgs_182_tpt_182_halfLds_dp_op_CI_CI_unitstride_sbrr_R2C_dirReg ; -- Begin function fft_rtc_back_len1638_factors_13_2_3_7_3_wgs_182_tpt_182_halfLds_dp_op_CI_CI_unitstride_sbrr_R2C_dirReg
	.globl	fft_rtc_back_len1638_factors_13_2_3_7_3_wgs_182_tpt_182_halfLds_dp_op_CI_CI_unitstride_sbrr_R2C_dirReg
	.p2align	8
	.type	fft_rtc_back_len1638_factors_13_2_3_7_3_wgs_182_tpt_182_halfLds_dp_op_CI_CI_unitstride_sbrr_R2C_dirReg,@function
fft_rtc_back_len1638_factors_13_2_3_7_3_wgs_182_tpt_182_halfLds_dp_op_CI_CI_unitstride_sbrr_R2C_dirReg: ; @fft_rtc_back_len1638_factors_13_2_3_7_3_wgs_182_tpt_182_halfLds_dp_op_CI_CI_unitstride_sbrr_R2C_dirReg
; %bb.0:
	s_load_dwordx4 s[8:11], s[4:5], 0x58
	s_load_dwordx4 s[12:15], s[4:5], 0x0
	;; [unrolled: 1-line block ×3, first 2 shown]
	s_mov_b64 s[50:51], s[2:3]
	s_mov_b64 s[48:49], s[0:1]
	v_mul_u32_u24_e32 v1, 0x169, v0
	s_waitcnt lgkmcnt(0)
	v_cmp_lt_u64_e64 s[0:1], s[14:15], 2
	s_add_u32 s48, s48, s7
	v_add_u32_sdwa v5, s6, v1 dst_sel:DWORD dst_unused:UNUSED_PAD src0_sel:DWORD src1_sel:WORD_1
	v_mov_b32_e32 v3, 0
	v_mov_b32_e32 v1, 0
	s_addc_u32 s49, s49, 0
	v_mov_b32_e32 v6, v3
	s_and_b64 vcc, exec, s[0:1]
	v_mov_b32_e32 v2, 0
	s_cbranch_vccnz .LBB0_8
; %bb.1:
	s_load_dwordx2 s[0:1], s[4:5], 0x10
	s_add_u32 s2, s18, 8
	s_addc_u32 s3, s19, 0
	s_add_u32 s6, s16, 8
	v_mov_b32_e32 v1, 0
	s_addc_u32 s7, s17, 0
	v_mov_b32_e32 v2, 0
	s_waitcnt lgkmcnt(0)
	s_add_u32 s20, s0, 8
	v_mov_b32_e32 v77, v2
	s_addc_u32 s21, s1, 0
	s_mov_b64 s[22:23], 1
	v_mov_b32_e32 v76, v1
.LBB0_2:                                ; =>This Inner Loop Header: Depth=1
	s_load_dwordx2 s[24:25], s[20:21], 0x0
                                        ; implicit-def: $vgpr78_vgpr79
	s_waitcnt lgkmcnt(0)
	v_or_b32_e32 v4, s25, v6
	v_cmp_ne_u64_e32 vcc, 0, v[3:4]
	s_and_saveexec_b64 s[0:1], vcc
	s_xor_b64 s[26:27], exec, s[0:1]
	s_cbranch_execz .LBB0_4
; %bb.3:                                ;   in Loop: Header=BB0_2 Depth=1
	v_cvt_f32_u32_e32 v4, s24
	v_cvt_f32_u32_e32 v7, s25
	s_sub_u32 s0, 0, s24
	s_subb_u32 s1, 0, s25
	v_mac_f32_e32 v4, 0x4f800000, v7
	v_rcp_f32_e32 v4, v4
	v_mul_f32_e32 v4, 0x5f7ffffc, v4
	v_mul_f32_e32 v7, 0x2f800000, v4
	v_trunc_f32_e32 v7, v7
	v_mac_f32_e32 v4, 0xcf800000, v7
	v_cvt_u32_f32_e32 v7, v7
	v_cvt_u32_f32_e32 v4, v4
	v_mul_lo_u32 v8, s0, v7
	v_mul_hi_u32 v9, s0, v4
	v_mul_lo_u32 v11, s1, v4
	v_mul_lo_u32 v10, s0, v4
	v_add_u32_e32 v8, v9, v8
	v_add_u32_e32 v8, v8, v11
	v_mul_hi_u32 v9, v4, v10
	v_mul_lo_u32 v11, v4, v8
	v_mul_hi_u32 v13, v4, v8
	v_mul_hi_u32 v12, v7, v10
	v_mul_lo_u32 v10, v7, v10
	v_mul_hi_u32 v14, v7, v8
	v_add_co_u32_e32 v9, vcc, v9, v11
	v_addc_co_u32_e32 v11, vcc, 0, v13, vcc
	v_mul_lo_u32 v8, v7, v8
	v_add_co_u32_e32 v9, vcc, v9, v10
	v_addc_co_u32_e32 v9, vcc, v11, v12, vcc
	v_addc_co_u32_e32 v10, vcc, 0, v14, vcc
	v_add_co_u32_e32 v8, vcc, v9, v8
	v_addc_co_u32_e32 v9, vcc, 0, v10, vcc
	v_add_co_u32_e32 v4, vcc, v4, v8
	v_addc_co_u32_e32 v7, vcc, v7, v9, vcc
	v_mul_lo_u32 v8, s0, v7
	v_mul_hi_u32 v9, s0, v4
	v_mul_lo_u32 v10, s1, v4
	v_mul_lo_u32 v11, s0, v4
	v_add_u32_e32 v8, v9, v8
	v_add_u32_e32 v8, v8, v10
	v_mul_lo_u32 v12, v4, v8
	v_mul_hi_u32 v13, v4, v11
	v_mul_hi_u32 v14, v4, v8
	;; [unrolled: 1-line block ×3, first 2 shown]
	v_mul_lo_u32 v11, v7, v11
	v_mul_hi_u32 v9, v7, v8
	v_add_co_u32_e32 v12, vcc, v13, v12
	v_addc_co_u32_e32 v13, vcc, 0, v14, vcc
	v_mul_lo_u32 v8, v7, v8
	v_add_co_u32_e32 v11, vcc, v12, v11
	v_addc_co_u32_e32 v10, vcc, v13, v10, vcc
	v_addc_co_u32_e32 v9, vcc, 0, v9, vcc
	v_add_co_u32_e32 v8, vcc, v10, v8
	v_addc_co_u32_e32 v9, vcc, 0, v9, vcc
	v_add_co_u32_e32 v4, vcc, v4, v8
	v_addc_co_u32_e32 v9, vcc, v7, v9, vcc
	v_mad_u64_u32 v[7:8], s[0:1], v5, v9, 0
	v_mul_hi_u32 v10, v5, v4
	v_add_co_u32_e32 v11, vcc, v10, v7
	v_addc_co_u32_e32 v12, vcc, 0, v8, vcc
	v_mad_u64_u32 v[7:8], s[0:1], v6, v4, 0
	v_mad_u64_u32 v[9:10], s[0:1], v6, v9, 0
	v_add_co_u32_e32 v4, vcc, v11, v7
	v_addc_co_u32_e32 v4, vcc, v12, v8, vcc
	v_addc_co_u32_e32 v7, vcc, 0, v10, vcc
	v_add_co_u32_e32 v4, vcc, v4, v9
	v_addc_co_u32_e32 v9, vcc, 0, v7, vcc
	v_mul_lo_u32 v10, s25, v4
	v_mul_lo_u32 v11, s24, v9
	v_mad_u64_u32 v[7:8], s[0:1], s24, v4, 0
	v_add3_u32 v8, v8, v11, v10
	v_sub_u32_e32 v10, v6, v8
	v_mov_b32_e32 v11, s25
	v_sub_co_u32_e32 v7, vcc, v5, v7
	v_subb_co_u32_e64 v10, s[0:1], v10, v11, vcc
	v_subrev_co_u32_e64 v11, s[0:1], s24, v7
	v_subbrev_co_u32_e64 v10, s[0:1], 0, v10, s[0:1]
	v_cmp_le_u32_e64 s[0:1], s25, v10
	v_cndmask_b32_e64 v12, 0, -1, s[0:1]
	v_cmp_le_u32_e64 s[0:1], s24, v11
	v_cndmask_b32_e64 v11, 0, -1, s[0:1]
	v_cmp_eq_u32_e64 s[0:1], s25, v10
	v_cndmask_b32_e64 v10, v12, v11, s[0:1]
	v_add_co_u32_e64 v11, s[0:1], 2, v4
	v_addc_co_u32_e64 v12, s[0:1], 0, v9, s[0:1]
	v_add_co_u32_e64 v13, s[0:1], 1, v4
	v_addc_co_u32_e64 v14, s[0:1], 0, v9, s[0:1]
	v_subb_co_u32_e32 v8, vcc, v6, v8, vcc
	v_cmp_ne_u32_e64 s[0:1], 0, v10
	v_cmp_le_u32_e32 vcc, s25, v8
	v_cndmask_b32_e64 v10, v14, v12, s[0:1]
	v_cndmask_b32_e64 v12, 0, -1, vcc
	v_cmp_le_u32_e32 vcc, s24, v7
	v_cndmask_b32_e64 v7, 0, -1, vcc
	v_cmp_eq_u32_e32 vcc, s25, v8
	v_cndmask_b32_e32 v7, v12, v7, vcc
	v_cmp_ne_u32_e32 vcc, 0, v7
	v_cndmask_b32_e64 v7, v13, v11, s[0:1]
	v_cndmask_b32_e32 v79, v9, v10, vcc
	v_cndmask_b32_e32 v78, v4, v7, vcc
.LBB0_4:                                ;   in Loop: Header=BB0_2 Depth=1
	s_andn2_saveexec_b64 s[0:1], s[26:27]
	s_cbranch_execz .LBB0_6
; %bb.5:                                ;   in Loop: Header=BB0_2 Depth=1
	v_cvt_f32_u32_e32 v4, s24
	s_sub_i32 s26, 0, s24
	v_mov_b32_e32 v79, v3
	v_rcp_iflag_f32_e32 v4, v4
	v_mul_f32_e32 v4, 0x4f7ffffe, v4
	v_cvt_u32_f32_e32 v4, v4
	v_mul_lo_u32 v7, s26, v4
	v_mul_hi_u32 v7, v4, v7
	v_add_u32_e32 v4, v4, v7
	v_mul_hi_u32 v4, v5, v4
	v_mul_lo_u32 v7, v4, s24
	v_add_u32_e32 v8, 1, v4
	v_sub_u32_e32 v7, v5, v7
	v_subrev_u32_e32 v9, s24, v7
	v_cmp_le_u32_e32 vcc, s24, v7
	v_cndmask_b32_e32 v7, v7, v9, vcc
	v_cndmask_b32_e32 v4, v4, v8, vcc
	v_add_u32_e32 v8, 1, v4
	v_cmp_le_u32_e32 vcc, s24, v7
	v_cndmask_b32_e32 v78, v4, v8, vcc
.LBB0_6:                                ;   in Loop: Header=BB0_2 Depth=1
	s_or_b64 exec, exec, s[0:1]
	v_mul_lo_u32 v4, v79, s24
	v_mul_lo_u32 v9, v78, s25
	v_mad_u64_u32 v[7:8], s[0:1], v78, s24, 0
	s_load_dwordx2 s[0:1], s[6:7], 0x0
	s_load_dwordx2 s[24:25], s[2:3], 0x0
	v_add3_u32 v4, v8, v9, v4
	v_sub_co_u32_e32 v5, vcc, v5, v7
	v_subb_co_u32_e32 v4, vcc, v6, v4, vcc
	s_waitcnt lgkmcnt(0)
	v_mul_lo_u32 v6, s0, v4
	v_mul_lo_u32 v7, s1, v5
	v_mad_u64_u32 v[1:2], s[0:1], s0, v5, v[1:2]
	v_mul_lo_u32 v4, s24, v4
	v_mul_lo_u32 v8, s25, v5
	v_mad_u64_u32 v[76:77], s[0:1], s24, v5, v[76:77]
	s_add_u32 s22, s22, 1
	s_addc_u32 s23, s23, 0
	s_add_u32 s2, s2, 8
	v_add3_u32 v77, v8, v77, v4
	s_addc_u32 s3, s3, 0
	v_mov_b32_e32 v4, s14
	s_add_u32 s6, s6, 8
	v_mov_b32_e32 v5, s15
	s_addc_u32 s7, s7, 0
	v_cmp_ge_u64_e32 vcc, s[22:23], v[4:5]
	s_add_u32 s20, s20, 8
	v_add3_u32 v2, v7, v2, v6
	s_addc_u32 s21, s21, 0
	s_cbranch_vccnz .LBB0_9
; %bb.7:                                ;   in Loop: Header=BB0_2 Depth=1
	v_mov_b32_e32 v5, v78
	v_mov_b32_e32 v6, v79
	s_branch .LBB0_2
.LBB0_8:
	v_mov_b32_e32 v77, v2
	v_mov_b32_e32 v79, v6
	;; [unrolled: 1-line block ×4, first 2 shown]
.LBB0_9:
	s_load_dwordx2 s[4:5], s[4:5], 0x28
	s_lshl_b64 s[6:7], s[14:15], 3
	s_add_u32 s2, s18, s6
	s_addc_u32 s3, s19, s7
                                        ; implicit-def: $vgpr80
	s_waitcnt lgkmcnt(0)
	v_cmp_gt_u64_e64 s[0:1], s[4:5], v[78:79]
	v_cmp_le_u64_e32 vcc, s[4:5], v[78:79]
	s_and_saveexec_b64 s[4:5], vcc
	s_xor_b64 s[4:5], exec, s[4:5]
; %bb.10:
	s_mov_b32 s14, 0x1681682
	v_mul_hi_u32 v1, v0, s14
	v_mul_u32_u24_e32 v1, 0xb6, v1
	v_sub_u32_e32 v80, v0, v1
                                        ; implicit-def: $vgpr0
                                        ; implicit-def: $vgpr1_vgpr2
; %bb.11:
	s_andn2_saveexec_b64 s[4:5], s[4:5]
	s_cbranch_execz .LBB0_13
; %bb.12:
	s_add_u32 s6, s16, s6
	s_addc_u32 s7, s17, s7
	s_load_dwordx2 s[6:7], s[6:7], 0x0
	s_mov_b32 s14, 0x1681682
	v_mul_hi_u32 v5, v0, s14
	s_waitcnt lgkmcnt(0)
	v_mul_lo_u32 v6, s7, v78
	v_mul_lo_u32 v7, s6, v79
	v_mad_u64_u32 v[3:4], s[6:7], s6, v78, 0
	v_mul_u32_u24_e32 v5, 0xb6, v5
	v_sub_u32_e32 v80, v0, v5
	v_add3_u32 v4, v4, v7, v6
	v_lshlrev_b64 v[3:4], 4, v[3:4]
	v_mov_b32_e32 v0, s9
	v_add_co_u32_e32 v3, vcc, s8, v3
	v_addc_co_u32_e32 v4, vcc, v0, v4, vcc
	v_lshlrev_b64 v[0:1], 4, v[1:2]
	v_lshlrev_b32_e32 v40, 4, v80
	v_add_co_u32_e32 v0, vcc, v3, v0
	v_addc_co_u32_e32 v1, vcc, v4, v1, vcc
	v_add_co_u32_e32 v24, vcc, v0, v40
	v_addc_co_u32_e32 v25, vcc, 0, v1, vcc
	s_movk_i32 s6, 0x1000
	v_add_co_u32_e32 v16, vcc, s6, v24
	v_addc_co_u32_e32 v17, vcc, 0, v25, vcc
	s_movk_i32 s6, 0x2000
	;; [unrolled: 3-line block ×3, first 2 shown]
	v_add_co_u32_e32 v28, vcc, s6, v24
	v_addc_co_u32_e32 v29, vcc, 0, v25, vcc
	v_add_co_u32_e32 v36, vcc, 0x4000, v24
	v_addc_co_u32_e32 v37, vcc, 0, v25, vcc
	v_add_co_u32_e32 v38, vcc, 0x5000, v24
	global_load_dwordx4 v[0:3], v[24:25], off
	global_load_dwordx4 v[4:7], v[24:25], off offset:2912
	global_load_dwordx4 v[8:11], v[16:17], off offset:1728
	;; [unrolled: 1-line block ×3, first 2 shown]
	s_nop 0
	global_load_dwordx4 v[16:19], v[26:27], off offset:3456
	global_load_dwordx4 v[20:23], v[28:29], off offset:2272
	v_addc_co_u32_e32 v39, vcc, 0, v25, vcc
	global_load_dwordx4 v[24:27], v[36:37], off offset:1088
	global_load_dwordx4 v[28:31], v[36:37], off offset:4000
	global_load_dwordx4 v[32:35], v[38:39], off offset:2816
	v_add_u32_e32 v36, 0, v40
	s_waitcnt vmcnt(8)
	ds_write_b128 v36, v[0:3]
	s_waitcnt vmcnt(7)
	ds_write_b128 v36, v[4:7] offset:2912
	s_waitcnt vmcnt(6)
	ds_write_b128 v36, v[8:11] offset:5824
	;; [unrolled: 2-line block ×8, first 2 shown]
.LBB0_13:
	s_or_b64 exec, exec, s[4:5]
	v_lshl_add_u32 v245, v80, 4, 0
	s_waitcnt lgkmcnt(0)
	s_barrier
	ds_read_b128 v[12:15], v245 offset:24192
	ds_read_b128 v[16:19], v245 offset:2016
	ds_read_b128 v[28:31], v245
	ds_read_b128 v[20:23], v245 offset:22176
	ds_read_b128 v[40:43], v245 offset:4032
	s_mov_b32 s28, 0x4267c47c
	s_waitcnt lgkmcnt(3)
	v_add_f64 v[74:75], v[18:19], -v[14:15]
	s_mov_b32 s29, 0xbfddbe06
	v_add_f64 v[149:150], v[16:17], v[12:13]
	s_waitcnt lgkmcnt(0)
	v_add_f64 v[72:73], v[42:43], -v[22:23]
	ds_read_b128 v[36:39], v245 offset:6048
	ds_read_b128 v[24:27], v245 offset:20160
	s_mov_b32 s6, 0xe00740e9
	s_mov_b32 s8, 0x42a4c3d2
	;; [unrolled: 1-line block ×3, first 2 shown]
	v_mul_f64 v[81:82], v[74:75], s[28:29]
	s_mov_b32 s9, 0xbfea55e2
	v_add_f64 v[173:174], v[18:19], v[14:15]
	v_add_f64 v[123:124], v[40:41], v[20:21]
	v_mul_f64 v[83:84], v[72:73], s[8:9]
	s_waitcnt lgkmcnt(0)
	v_add_f64 v[183:184], v[38:39], -v[26:27]
	ds_read_b128 v[48:51], v245 offset:18144
	ds_read_b128 v[52:55], v245 offset:8064
	v_fma_f64 v[0:1], v[149:150], s[6:7], -v[81:82]
	s_mov_b32 s4, 0x1ea71119
	s_mov_b32 s16, 0x66966769
	s_mov_b32 s5, 0x3fe22d96
	s_mov_b32 s17, 0xbfefc445
	v_add_f64 v[161:162], v[16:17], -v[12:13]
	v_mul_f64 v[85:86], v[173:174], s[6:7]
	v_add_f64 v[179:180], v[42:43], v[22:23]
	v_add_f64 v[0:1], v[28:29], v[0:1]
	v_fma_f64 v[4:5], v[123:124], s[4:5], -v[83:84]
	v_add_f64 v[127:128], v[36:37], v[24:25]
	v_mul_f64 v[89:90], v[183:184], s[16:17]
	s_waitcnt lgkmcnt(0)
	v_add_f64 v[201:202], v[54:55], -v[50:51]
	ds_read_b128 v[60:63], v245 offset:10080
	ds_read_b128 v[56:59], v245 offset:16128
	s_mov_b32 s14, 0xebaa3ed8
	s_mov_b32 s24, 0x2ef20147
	;; [unrolled: 1-line block ×4, first 2 shown]
	v_fma_f64 v[2:3], v[161:162], s[28:29], v[85:86]
	v_add_f64 v[125:126], v[40:41], -v[20:21]
	v_mul_f64 v[87:88], v[179:180], s[4:5]
	v_add_f64 v[181:182], v[38:39], v[26:27]
	v_add_f64 v[0:1], v[4:5], v[0:1]
	v_fma_f64 v[4:5], v[127:128], s[14:15], -v[89:90]
	v_add_f64 v[141:142], v[52:53], v[48:49]
	v_mul_f64 v[93:94], v[201:202], s[24:25]
	s_waitcnt lgkmcnt(0)
	v_add_f64 v[209:210], v[62:63], -v[58:59]
	v_mul_f64 v[105:106], v[74:75], s[8:9]
	ds_read_b128 v[68:71], v245 offset:12096
	ds_read_b128 v[64:67], v245 offset:14112
	s_mov_b32 s26, 0xb2365da1
	s_mov_b32 s20, 0x24c2f84
	;; [unrolled: 1-line block ×4, first 2 shown]
	v_add_f64 v[2:3], v[30:31], v[2:3]
	v_fma_f64 v[6:7], v[125:126], s[8:9], v[87:88]
	v_add_f64 v[131:132], v[36:37], -v[24:25]
	v_mul_f64 v[91:92], v[181:182], s[14:15]
	v_add_f64 v[185:186], v[54:55], v[50:51]
	v_add_f64 v[0:1], v[4:5], v[0:1]
	v_fma_f64 v[4:5], v[141:142], s[26:27], -v[93:94]
	v_add_f64 v[153:154], v[60:61], v[56:57]
	v_mul_f64 v[97:98], v[209:210], s[20:21]
	s_waitcnt lgkmcnt(0)
	v_add_f64 v[221:222], v[70:71], -v[66:67]
	v_fma_f64 v[8:9], v[149:150], s[4:5], -v[105:106]
	v_mul_f64 v[107:108], v[72:73], s[24:25]
	s_mov_b32 s18, 0xd0032e0c
	s_mov_b32 s30, 0x4bc48dbf
	s_mov_b32 s19, 0xbfe7f3cc
	s_mov_b32 s31, 0xbfcea1e5
	v_add_f64 v[2:3], v[6:7], v[2:3]
	v_fma_f64 v[6:7], v[131:132], s[16:17], v[91:92]
	v_add_f64 v[145:146], v[52:53], -v[48:49]
	v_mul_f64 v[95:96], v[185:186], s[26:27]
	v_add_f64 v[193:194], v[62:63], v[58:59]
	v_add_f64 v[0:1], v[4:5], v[0:1]
	v_fma_f64 v[4:5], v[153:154], s[18:19], -v[97:98]
	v_mul_f64 v[137:138], v[173:174], s[4:5]
	v_add_f64 v[169:170], v[68:69], v[64:65]
	v_mul_f64 v[101:102], v[221:222], s[30:31]
	v_add_f64 v[8:9], v[28:29], v[8:9]
	v_fma_f64 v[32:33], v[123:124], s[26:27], -v[107:108]
	v_mul_f64 v[109:110], v[183:184], s[30:31]
	s_mov_b32 s34, 0x93053d00
	s_mov_b32 s35, 0xbfef11f4
	v_add_f64 v[2:3], v[6:7], v[2:3]
	v_fma_f64 v[6:7], v[145:146], s[24:25], v[95:96]
	v_add_f64 v[157:158], v[60:61], -v[56:57]
	v_mul_f64 v[99:100], v[193:194], s[18:19]
	v_add_f64 v[217:218], v[70:71], v[66:67]
	v_fma_f64 v[10:11], v[161:162], s[8:9], v[137:138]
	v_mul_f64 v[113:114], v[179:180], s[26:27]
	v_add_f64 v[0:1], v[4:5], v[0:1]
	v_fma_f64 v[4:5], v[169:170], s[34:35], -v[101:102]
	v_add_f64 v[8:9], v[32:33], v[8:9]
	v_fma_f64 v[32:33], v[127:128], s[34:35], -v[109:110]
	v_mul_f64 v[133:134], v[74:75], s[16:17]
	s_mov_b32 s41, 0x3fe5384d
	s_mov_b32 s40, s20
	v_add_f64 v[2:3], v[6:7], v[2:3]
	v_fma_f64 v[6:7], v[157:158], s[20:21], v[99:100]
	v_add_f64 v[171:172], v[68:69], -v[64:65]
	v_mul_f64 v[103:104], v[217:218], s[34:35]
	v_add_f64 v[10:11], v[30:31], v[10:11]
	v_fma_f64 v[34:35], v[125:126], s[24:25], v[113:114]
	v_mul_f64 v[117:118], v[181:182], s[34:35]
	v_mul_f64 v[111:112], v[201:202], s[40:41]
	v_add_f64 v[0:1], v[4:5], v[0:1]
	v_add_f64 v[4:5], v[32:33], v[8:9]
	v_fma_f64 v[32:33], v[149:150], s[14:15], -v[133:134]
	v_mul_f64 v[139:140], v[72:73], s[30:31]
	s_mov_b32 s39, 0x3fefc445
	s_mov_b32 s38, s16
	;; [unrolled: 1-line block ×4, first 2 shown]
	v_add_f64 v[2:3], v[6:7], v[2:3]
	v_fma_f64 v[6:7], v[171:172], s[30:31], v[103:104]
	v_add_f64 v[10:11], v[34:35], v[10:11]
	v_fma_f64 v[34:35], v[131:132], s[30:31], v[117:118]
	v_fma_f64 v[8:9], v[141:142], s[18:19], -v[111:112]
	v_mul_f64 v[177:178], v[173:174], s[14:15]
	v_mul_f64 v[115:116], v[209:210], s[38:39]
	v_add_f64 v[32:33], v[28:29], v[32:33]
	v_fma_f64 v[44:45], v[123:124], s[34:35], -v[139:140]
	v_mul_f64 v[143:144], v[183:184], s[42:43]
	s_mov_b32 s37, 0x3fddbe06
	s_mov_b32 s36, s28
	v_mul_f64 v[119:120], v[185:186], s[18:19]
	v_add_f64 v[2:3], v[6:7], v[2:3]
	v_add_f64 v[6:7], v[34:35], v[10:11]
	v_fma_f64 v[34:35], v[161:162], s[16:17], v[177:178]
	v_mul_f64 v[175:176], v[179:180], s[34:35]
	v_add_f64 v[4:5], v[8:9], v[4:5]
	v_fma_f64 v[8:9], v[153:154], s[14:15], -v[115:116]
	v_mul_f64 v[121:122], v[221:222], s[36:37]
	v_add_f64 v[32:33], v[44:45], v[32:33]
	v_fma_f64 v[44:45], v[127:128], s[26:27], -v[143:144]
	v_mul_f64 v[147:148], v[201:202], s[36:37]
	v_fma_f64 v[10:11], v[145:146], s[40:41], v[119:120]
	v_mul_f64 v[129:130], v[193:194], s[14:15]
	v_add_f64 v[34:35], v[30:31], v[34:35]
	v_fma_f64 v[46:47], v[125:126], s[30:31], v[175:176]
	v_mul_f64 v[155:156], v[181:182], s[26:27]
	v_add_f64 v[4:5], v[8:9], v[4:5]
	v_fma_f64 v[8:9], v[169:170], s[6:7], -v[121:122]
	v_add_f64 v[32:33], v[44:45], v[32:33]
	v_fma_f64 v[44:45], v[141:142], s[6:7], -v[147:148]
	v_mul_f64 v[151:152], v[209:210], s[8:9]
	v_mul_f64 v[191:192], v[74:75], s[24:25]
	v_add_f64 v[6:7], v[10:11], v[6:7]
	v_fma_f64 v[10:11], v[157:158], s[38:39], v[129:130]
	v_mul_f64 v[135:136], v[217:218], s[6:7]
	v_add_f64 v[34:35], v[46:47], v[34:35]
	v_fma_f64 v[46:47], v[131:132], s[42:43], v[155:156]
	v_mul_f64 v[159:160], v[185:186], s[6:7]
	v_add_f64 v[4:5], v[8:9], v[4:5]
	v_add_f64 v[8:9], v[44:45], v[32:33]
	v_fma_f64 v[32:33], v[153:154], s[4:5], -v[151:152]
	v_mul_f64 v[165:166], v[221:222], s[20:21]
	v_fma_f64 v[44:45], v[149:150], s[26:27], -v[191:192]
	v_mul_f64 v[187:188], v[72:73], s[40:41]
	v_add_f64 v[6:7], v[10:11], v[6:7]
	v_fma_f64 v[10:11], v[171:172], s[36:37], v[135:136]
	v_add_f64 v[34:35], v[46:47], v[34:35]
	v_fma_f64 v[46:47], v[145:146], s[36:37], v[159:160]
	v_mul_f64 v[163:164], v[193:194], s[4:5]
	v_mul_f64 v[207:208], v[173:174], s[26:27]
	v_add_f64 v[8:9], v[32:33], v[8:9]
	v_fma_f64 v[32:33], v[169:170], s[18:19], -v[165:166]
	v_add_f64 v[44:45], v[28:29], v[44:45]
	v_fma_f64 v[195:196], v[123:124], s[18:19], -v[187:188]
	v_mul_f64 v[227:228], v[74:75], s[20:21]
	v_mul_f64 v[243:244], v[173:174], s[18:19]
	v_add_f64 v[6:7], v[10:11], v[6:7]
	v_add_f64 v[10:11], v[46:47], v[34:35]
	v_fma_f64 v[34:35], v[157:158], s[8:9], v[163:164]
	v_mul_f64 v[167:168], v[217:218], s[18:19]
	v_fma_f64 v[46:47], v[161:162], s[24:25], v[207:208]
	v_mul_f64 v[203:204], v[179:180], s[18:19]
	v_add_f64 v[8:9], v[32:33], v[8:9]
	v_add_f64 v[32:33], v[195:196], v[44:45]
	v_fma_f64 v[195:196], v[149:150], s[18:19], -v[227:228]
	v_mul_f64 v[225:226], v[72:73], s[38:39]
	v_fma_f64 v[199:200], v[161:162], s[20:21], v[243:244]
	v_mul_f64 v[241:242], v[179:180], s[14:15]
	v_add_f64 v[10:11], v[34:35], v[10:11]
	v_fma_f64 v[34:35], v[171:172], s[20:21], v[167:168]
	v_add_f64 v[46:47], v[30:31], v[46:47]
	v_fma_f64 v[197:198], v[125:126], s[40:41], v[203:204]
	v_mul_f64 v[189:190], v[183:184], s[36:37]
	v_mul_f64 v[205:206], v[181:182], s[6:7]
	v_add_f64 v[213:214], v[28:29], v[195:196]
	v_fma_f64 v[219:220], v[123:124], s[14:15], -v[225:226]
	v_add_f64 v[199:200], v[30:31], v[199:200]
	v_fma_f64 v[229:230], v[125:126], s[38:39], v[241:242]
	v_mul_f64 v[223:224], v[183:184], s[8:9]
	v_mul_f64 v[239:240], v[181:182], s[4:5]
	s_mov_b32 s45, 0x3fcea1e5
	s_mov_b32 s44, s30
	v_add_f64 v[10:11], v[34:35], v[10:11]
	v_add_f64 v[34:35], v[197:198], v[46:47]
	v_fma_f64 v[44:45], v[127:128], s[6:7], -v[189:190]
	v_fma_f64 v[46:47], v[131:132], s[36:37], v[205:206]
	v_mul_f64 v[197:198], v[201:202], s[16:17]
	v_mul_f64 v[215:216], v[185:186], s[14:15]
	v_add_f64 v[213:214], v[219:220], v[213:214]
	v_add_f64 v[199:200], v[229:230], v[199:200]
	v_fma_f64 v[229:230], v[127:128], s[4:5], -v[223:224]
	v_fma_f64 v[231:232], v[131:132], s[8:9], v[239:240]
	v_mul_f64 v[219:220], v[201:202], s[44:45]
	v_mul_f64 v[237:238], v[185:186], s[34:35]
	;; [unrolled: 6-line block ×4, first 2 shown]
	s_mov_b32 s47, 0x3fea55e2
	s_mov_b32 s46, s8
	v_add_f64 v[32:33], v[44:45], v[32:33]
	v_add_f64 v[34:35], v[46:47], v[34:35]
	v_fma_f64 v[44:45], v[153:154], s[34:35], -v[195:196]
	v_fma_f64 v[46:47], v[157:158], s[44:45], v[211:212]
	v_mul_f64 v[199:200], v[221:222], s[46:47]
	v_mul_f64 v[213:214], v[217:218], s[4:5]
	v_add_f64 v[246:247], v[246:247], v[233:234]
	v_add_f64 v[248:249], v[248:249], v[231:232]
	v_fma_f64 v[250:251], v[153:154], s[6:7], -v[229:230]
	v_fma_f64 v[252:253], v[157:158], s[36:37], v[235:236]
	v_mul_f64 v[231:232], v[221:222], s[24:25]
	v_mul_f64 v[233:234], v[217:218], s[26:27]
	v_add_f64 v[32:33], v[44:45], v[32:33]
	v_add_f64 v[34:35], v[46:47], v[34:35]
	v_fma_f64 v[44:45], v[169:170], s[4:5], -v[199:200]
	v_fma_f64 v[46:47], v[171:172], s[46:47], v[213:214]
	v_add_f64 v[246:247], v[250:251], v[246:247]
	v_add_f64 v[248:249], v[252:253], v[248:249]
	v_fma_f64 v[250:251], v[169:170], s[26:27], -v[231:232]
	v_fma_f64 v[252:253], v[171:172], s[24:25], v[233:234]
	s_movk_i32 s22, 0x7e
	v_cmp_gt_u32_e32 vcc, s22, v80
	v_add_f64 v[44:45], v[44:45], v[32:33]
	v_add_f64 v[46:47], v[46:47], v[34:35]
	s_barrier
	v_add_f64 v[32:33], v[250:251], v[246:247]
	v_add_f64 v[34:35], v[252:253], v[248:249]
	s_and_saveexec_b64 s[22:23], vcc
	s_cbranch_execz .LBB0_15
; %bb.14:
	v_mul_f64 v[246:247], v[161:162], s[30:31]
	v_mul_f64 v[248:249], v[125:126], s[36:37]
	;; [unrolled: 1-line block ×3, first 2 shown]
	buffer_store_dword v81, off, s[48:51], 0 ; 4-byte Folded Spill
	s_nop 0
	buffer_store_dword v82, off, s[48:51], 0 offset:4 ; 4-byte Folded Spill
	buffer_store_dword v83, off, s[48:51], 0 offset:8 ; 4-byte Folded Spill
	s_nop 0
	buffer_store_dword v84, off, s[48:51], 0 offset:12 ; 4-byte Folded Spill
	buffer_store_dword v85, off, s[48:51], 0 offset:16 ; 4-byte Folded Spill
	;; [unrolled: 3-line block ×3, first 2 shown]
	s_nop 0
	buffer_store_dword v88, off, s[48:51], 0 offset:28 ; 4-byte Folded Spill
	v_add_f64 v[18:19], v[30:31], v[18:19]
	v_fma_f64 v[250:251], v[173:174], s[34:35], v[246:247]
	v_fma_f64 v[252:253], v[179:180], s[6:7], v[248:249]
	v_fma_f64 v[179:180], v[179:180], s[6:7], -v[248:249]
	v_add_f64 v[16:17], v[28:29], v[16:17]
	v_mul_f64 v[248:249], v[171:172], s[36:37]
	v_add_f64 v[18:19], v[18:19], v[42:43]
	v_add_f64 v[250:251], v[30:31], v[250:251]
	;; [unrolled: 1-line block ×5, first 2 shown]
	v_fma_f64 v[250:251], v[149:150], s[34:35], -v[254:255]
	v_mul_f64 v[252:253], v[72:73], s[36:37]
	v_add_f64 v[16:17], v[16:17], v[36:37]
	v_add_f64 v[18:19], v[18:19], v[54:55]
	;; [unrolled: 1-line block ×3, first 2 shown]
	v_fma_f64 v[250:251], v[123:124], s[6:7], -v[252:253]
	v_add_f64 v[16:17], v[16:17], v[52:53]
	v_add_f64 v[18:19], v[18:19], v[62:63]
	;; [unrolled: 1-line block ×3, first 2 shown]
	v_mul_f64 v[250:251], v[131:132], s[20:21]
	v_add_f64 v[16:17], v[16:17], v[60:61]
	v_add_f64 v[18:19], v[18:19], v[70:71]
	v_fma_f64 v[81:82], v[181:182], s[18:19], v[250:251]
	v_add_f64 v[16:17], v[16:17], v[68:69]
	v_add_f64 v[18:19], v[18:19], v[66:67]
	;; [unrolled: 1-line block ×3, first 2 shown]
	v_mul_f64 v[81:82], v[183:184], s[20:21]
	v_add_f64 v[16:17], v[16:17], v[64:65]
	v_add_f64 v[18:19], v[18:19], v[58:59]
	v_fma_f64 v[183:184], v[127:128], s[18:19], -v[81:82]
	v_fma_f64 v[81:82], v[127:128], s[18:19], v[81:82]
	v_add_f64 v[16:17], v[16:17], v[56:57]
	v_add_f64 v[18:19], v[18:19], v[50:51]
	;; [unrolled: 1-line block ×3, first 2 shown]
	v_mul_f64 v[183:184], v[145:146], s[46:47]
	v_add_f64 v[16:17], v[16:17], v[48:49]
	v_add_f64 v[18:19], v[18:19], v[26:27]
	v_fma_f64 v[83:84], v[185:186], s[4:5], v[183:184]
	v_add_f64 v[16:17], v[16:17], v[24:25]
	v_add_f64 v[18:19], v[18:19], v[22:23]
	;; [unrolled: 1-line block ×3, first 2 shown]
	v_mul_f64 v[83:84], v[201:202], s[46:47]
	v_add_f64 v[22:23], v[16:17], v[20:21]
	v_fma_f64 v[201:202], v[141:142], s[4:5], -v[83:84]
	v_fma_f64 v[83:84], v[141:142], s[4:5], v[83:84]
	v_add_f64 v[72:73], v[201:202], v[72:73]
	v_mul_f64 v[201:202], v[157:158], s[24:25]
	v_fma_f64 v[85:86], v[193:194], s[26:27], v[201:202]
	v_add_f64 v[74:75], v[85:86], v[74:75]
	v_mul_f64 v[85:86], v[209:210], s[24:25]
	v_fma_f64 v[209:210], v[153:154], s[26:27], -v[85:86]
	v_fma_f64 v[85:86], v[153:154], s[26:27], v[85:86]
	v_add_f64 v[72:73], v[209:210], v[72:73]
	v_mul_f64 v[209:210], v[221:222], s[38:39]
	v_mul_f64 v[221:222], v[171:172], s[38:39]
	v_fma_f64 v[87:88], v[217:218], s[14:15], v[221:222]
	v_fma_f64 v[217:218], v[217:218], s[14:15], -v[221:222]
	v_mul_f64 v[221:222], v[161:162], s[20:21]
	v_add_f64 v[74:75], v[87:88], v[74:75]
	v_fma_f64 v[87:88], v[169:170], s[14:15], -v[209:210]
	v_add_f64 v[72:73], v[87:88], v[72:73]
	v_fma_f64 v[87:88], v[173:174], s[34:35], -v[246:247]
	v_fma_f64 v[173:174], v[181:182], s[18:19], -v[250:251]
	v_fma_f64 v[181:182], v[123:124], s[6:7], v[252:253]
	v_mul_f64 v[246:247], v[149:150], s[6:7]
	v_add_f64 v[87:88], v[30:31], v[87:88]
	v_add_f64 v[87:88], v[179:180], v[87:88]
	v_fma_f64 v[179:180], v[149:150], s[34:35], v[254:255]
	v_add_f64 v[87:88], v[173:174], v[87:88]
	v_add_f64 v[179:180], v[28:29], v[179:180]
	v_mul_f64 v[173:174], v[149:150], s[4:5]
	v_add_f64 v[179:180], v[181:182], v[179:180]
	v_fma_f64 v[181:182], v[185:186], s[4:5], -v[183:184]
	v_add_f64 v[185:186], v[243:244], -v[221:222]
	v_mul_f64 v[221:222], v[125:126], s[38:39]
	v_mul_f64 v[243:244], v[161:162], s[8:9]
	;; [unrolled: 1-line block ×3, first 2 shown]
	v_add_f64 v[68:69], v[173:174], v[105:106]
	v_add_f64 v[81:82], v[81:82], v[179:180]
	v_fma_f64 v[179:180], v[193:194], s[26:27], -v[201:202]
	v_add_f64 v[87:88], v[181:182], v[87:88]
	v_mul_f64 v[181:182], v[131:132], s[8:9]
	v_add_f64 v[201:202], v[241:242], -v[221:222]
	v_add_f64 v[185:186], v[30:31], v[185:186]
	v_mul_f64 v[193:194], v[149:150], s[14:15]
	v_mul_f64 v[241:242], v[125:126], s[24:25]
	v_add_f64 v[81:82], v[83:84], v[81:82]
	v_add_f64 v[137:138], v[137:138], -v[243:244]
	v_add_f64 v[87:88], v[179:180], v[87:88]
	v_add_f64 v[181:182], v[239:240], -v[181:182]
	v_mul_f64 v[239:240], v[145:146], s[44:45]
	v_add_f64 v[185:186], v[201:202], v[185:186]
	v_fma_f64 v[179:180], v[169:170], s[14:15], v[209:210]
	v_mul_f64 v[209:210], v[157:158], s[36:37]
	v_add_f64 v[81:82], v[85:86], v[81:82]
	v_mul_f64 v[83:84], v[149:150], s[26:27]
	v_mul_f64 v[149:150], v[149:150], s[18:19]
	;; [unrolled: 1-line block ×3, first 2 shown]
	v_add_f64 v[237:238], v[237:238], -v[239:240]
	v_add_f64 v[185:186], v[181:182], v[185:186]
	v_add_f64 v[181:182], v[217:218], v[87:88]
	v_add_f64 v[209:210], v[235:236], -v[209:210]
	v_mul_f64 v[235:236], v[169:170], s[26:27]
	v_add_f64 v[179:180], v[179:180], v[81:82]
	v_mul_f64 v[81:82], v[123:124], s[34:35]
	v_mul_f64 v[217:218], v[125:126], s[30:31]
	;; [unrolled: 1-line block ×3, first 2 shown]
	v_add_f64 v[185:186], v[237:238], v[185:186]
	v_add_f64 v[133:134], v[193:194], v[133:134]
	v_add_f64 v[113:114], v[113:114], -v[241:242]
	v_add_f64 v[231:232], v[235:236], v[231:232]
	v_mul_f64 v[235:236], v[127:128], s[4:5]
	v_add_f64 v[137:138], v[30:31], v[137:138]
	v_mul_f64 v[221:222], v[161:162], s[16:17]
	v_mul_f64 v[161:162], v[161:162], s[24:25]
	v_add_f64 v[185:186], v[209:210], v[185:186]
	v_mul_f64 v[209:210], v[153:154], s[6:7]
	v_mul_f64 v[201:202], v[123:124], s[4:5]
	;; [unrolled: 1-line block ×3, first 2 shown]
	v_add_f64 v[223:224], v[235:236], v[223:224]
	v_mul_f64 v[235:236], v[131:132], s[30:31]
	v_add_f64 v[149:150], v[149:150], v[227:228]
	v_mul_f64 v[227:228], v[123:124], s[18:19]
	v_mul_f64 v[123:124], v[123:124], s[14:15]
	v_add_f64 v[209:210], v[209:210], v[229:230]
	v_mul_f64 v[229:230], v[141:142], s[34:35]
	v_add_f64 v[125:126], v[203:204], -v[125:126]
	v_mul_f64 v[203:204], v[127:128], s[26:27]
	v_add_f64 v[42:43], v[81:82], v[139:140]
	v_add_f64 v[81:82], v[28:29], v[133:134]
	v_add_f64 v[117:118], v[117:118], -v[235:236]
	v_add_f64 v[113:114], v[113:114], v[137:138]
	v_add_f64 v[123:124], v[123:124], v[225:226]
	;; [unrolled: 1-line block ×3, first 2 shown]
	v_mul_f64 v[229:230], v[145:146], s[16:17]
	v_add_f64 v[149:150], v[28:29], v[149:150]
	v_add_f64 v[161:162], v[207:208], -v[161:162]
	v_add_f64 v[38:39], v[203:204], v[143:144]
	v_add_f64 v[42:43], v[42:43], v[81:82]
	;; [unrolled: 1-line block ×3, first 2 shown]
	v_mul_f64 v[87:88], v[171:172], s[24:25]
	v_add_f64 v[83:84], v[83:84], v[191:192]
	v_add_f64 v[215:216], v[215:216], -v[229:230]
	v_mul_f64 v[229:230], v[145:146], s[40:41]
	v_add_f64 v[123:124], v[123:124], v[149:150]
	v_mul_f64 v[149:150], v[131:132], s[36:37]
	v_add_f64 v[161:162], v[30:31], v[161:162]
	v_add_f64 v[38:39], v[38:39], v[42:43]
	v_add_f64 v[87:88], v[233:234], -v[87:88]
	v_mul_f64 v[233:234], v[127:128], s[14:15]
	v_mul_f64 v[207:208], v[127:128], s[34:35]
	v_add_f64 v[81:82], v[119:120], -v[229:230]
	v_add_f64 v[123:124], v[223:224], v[123:124]
	v_add_f64 v[149:150], v[205:206], -v[149:150]
	v_add_f64 v[125:126], v[125:126], v[161:162]
	v_mul_f64 v[127:128], v[127:128], s[6:7]
	v_add_f64 v[83:84], v[28:29], v[83:84]
	v_mul_f64 v[205:206], v[141:142], s[26:27]
	v_mul_f64 v[223:224], v[141:142], s[18:19]
	v_add_f64 v[42:43], v[81:82], v[113:114]
	buffer_load_dword v81, off, s[48:51], 0 offset:16 ; 4-byte Folded Reload
	buffer_load_dword v82, off, s[48:51], 0 offset:20 ; 4-byte Folded Reload
	v_add_f64 v[219:220], v[219:220], v[123:124]
	v_add_f64 v[125:126], v[149:150], v[125:126]
	v_mul_f64 v[149:150], v[157:158], s[44:45]
	v_add_f64 v[123:124], v[227:228], v[187:188]
	v_mul_f64 v[191:192], v[141:142], s[6:7]
	v_mul_f64 v[141:142], v[141:142], s[14:15]
	v_add_f64 v[127:128], v[127:128], v[189:190]
	v_add_f64 v[177:178], v[177:178], -v[221:222]
	v_mul_f64 v[225:226], v[131:132], s[16:17]
	v_add_f64 v[125:126], v[215:216], v[125:126]
	v_add_f64 v[149:150], v[211:212], -v[149:150]
	v_mul_f64 v[211:212], v[171:172], s[46:47]
	v_add_f64 v[83:84], v[123:124], v[83:84]
	v_add_f64 v[141:142], v[141:142], v[197:198]
	v_mul_f64 v[131:132], v[131:132], s[42:43]
	v_mul_f64 v[161:162], v[145:146], s[24:25]
	;; [unrolled: 1-line block ×4, first 2 shown]
	v_add_f64 v[125:126], v[149:150], v[125:126]
	v_add_f64 v[211:212], v[213:214], -v[211:212]
	v_add_f64 v[83:84], v[127:128], v[83:84]
	v_mul_f64 v[189:190], v[157:158], s[38:39]
	v_add_f64 v[131:132], v[155:156], -v[131:132]
	v_mul_f64 v[157:158], v[157:158], s[8:9]
	v_add_f64 v[40:41], v[159:160], -v[145:146]
	v_add_f64 v[70:71], v[239:240], v[107:108]
	v_add_f64 v[66:67], v[91:92], -v[225:226]
	v_add_f64 v[127:128], v[211:212], v[125:126]
	v_add_f64 v[83:84], v[141:142], v[83:84]
	v_add_f64 v[125:126], v[175:176], -v[217:218]
	v_add_f64 v[141:142], v[30:31], v[177:178]
	v_add_f64 v[36:37], v[163:164], -v[157:158]
	;; [unrolled: 2-line block ×3, first 2 shown]
	v_mul_f64 v[237:238], v[153:154], s[18:19]
	v_mul_f64 v[215:216], v[153:154], s[14:15]
	v_add_f64 v[56:57], v[223:224], v[111:112]
	v_mul_f64 v[227:228], v[153:154], s[4:5]
	v_add_f64 v[125:126], v[125:126], v[141:142]
	v_add_f64 v[54:55], v[191:192], v[147:148]
	v_mul_f64 v[153:154], v[153:154], s[34:35]
	v_mul_f64 v[149:150], v[171:172], s[30:31]
	v_add_f64 v[50:51], v[99:100], -v[187:188]
	v_mul_f64 v[213:214], v[169:170], s[34:35]
	v_mul_f64 v[197:198], v[169:170], s[6:7]
	v_add_f64 v[48:49], v[215:216], v[115:116]
	v_add_f64 v[125:126], v[131:132], v[125:126]
	v_mul_f64 v[221:222], v[169:170], s[18:19]
	v_mul_f64 v[171:172], v[171:172], s[20:21]
	v_add_f64 v[62:63], v[227:228], v[151:152]
	v_add_f64 v[38:39], v[54:55], v[38:39]
	v_mul_f64 v[169:170], v[169:170], s[4:5]
	v_add_f64 v[153:154], v[153:154], v[195:196]
	v_add_f64 v[54:55], v[135:136], -v[248:249]
	v_add_f64 v[40:41], v[40:41], v[125:126]
	v_add_f64 v[60:61], v[221:222], v[165:166]
	v_add_f64 v[52:53], v[167:168], -v[171:172]
	v_add_f64 v[123:124], v[87:88], v[185:186]
	v_add_f64 v[38:39], v[62:63], v[38:39]
	;; [unrolled: 1-line block ×6, first 2 shown]
	v_add_f64 v[40:41], v[129:130], -v[189:190]
	s_movk_i32 s4, 0xc0
	v_add_f64 v[125:126], v[169:170], v[83:84]
	v_add_f64 v[16:17], v[52:53], v[36:37]
	;; [unrolled: 1-line block ×3, first 2 shown]
	buffer_load_dword v42, off, s[48:51], 0 ; 4-byte Folded Reload
	buffer_load_dword v43, off, s[48:51], 0 offset:4 ; 4-byte Folded Reload
	buffer_load_dword v105, off, s[48:51], 0 offset:24 ; 4-byte Folded Reload
	;; [unrolled: 1-line block ×3, first 2 shown]
	s_waitcnt vmcnt(4)
	v_add_f64 v[81:82], v[81:82], -v[183:184]
	v_add_f64 v[20:21], v[54:55], v[40:41]
	v_add_f64 v[30:31], v[30:31], v[81:82]
	buffer_load_dword v81, off, s[48:51], 0 offset:8 ; 4-byte Folded Reload
	buffer_load_dword v82, off, s[48:51], 0 offset:12 ; 4-byte Folded Reload
	s_waitcnt vmcnt(4)
	v_add_f64 v[42:43], v[246:247], v[42:43]
	s_waitcnt vmcnt(2)
	v_add_f64 v[85:86], v[105:106], -v[85:86]
	v_add_f64 v[42:43], v[28:29], v[42:43]
	v_add_f64 v[28:29], v[28:29], v[68:69]
	;; [unrolled: 1-line block ×4, first 2 shown]
	s_waitcnt vmcnt(0)
	v_add_f64 v[81:82], v[201:202], v[81:82]
	v_add_f64 v[28:29], v[70:71], v[28:29]
	;; [unrolled: 1-line block ×10, first 2 shown]
	v_add_f64 v[28:29], v[103:104], -v[149:150]
	v_add_f64 v[30:31], v[50:51], v[30:31]
	v_add_f64 v[50:51], v[213:214], v[101:102]
	;; [unrolled: 1-line block ×7, first 2 shown]
	v_mad_u32_u24 v12, v80, s4, v245
	v_add_f64 v[56:57], v[58:59], v[24:25]
	v_add_f64 v[24:25], v[28:29], v[30:31]
	;; [unrolled: 1-line block ×6, first 2 shown]
	ds_write_b128 v12, v[26:29]
	ds_write_b128 v12, v[22:25] offset:16
	ds_write_b128 v12, v[18:21] offset:32
	;; [unrolled: 1-line block ×12, first 2 shown]
.LBB0_15:
	s_or_b64 exec, exec, s[22:23]
	s_waitcnt lgkmcnt(0)
	s_barrier
	ds_read_b128 v[14:17], v245
	ds_read_b128 v[18:21], v245 offset:2912
	ds_read_b128 v[40:43], v245 offset:13104
	;; [unrolled: 1-line block ×7, first 2 shown]
	s_movk_i32 s4, 0x5b
	v_cmp_gt_u32_e32 vcc, s4, v80
	s_and_saveexec_b64 s[4:5], vcc
	s_cbranch_execz .LBB0_17
; %bb.16:
	ds_read_b128 v[32:35], v245 offset:11648
	ds_read_b128 v[44:47], v245 offset:24752
.LBB0_17:
	s_or_b64 exec, exec, s[4:5]
	s_movk_i32 s4, 0x4f
	v_mul_lo_u16_sdwa v59, v80, s4 dst_sel:DWORD dst_unused:UNUSED_PAD src0_sel:BYTE_0 src1_sel:DWORD
	v_add_u32_e32 v57, 0xb6, v80
	v_lshrrev_b16_e32 v74, 10, v59
	s_movk_i32 s4, 0x4ec5
	v_mul_lo_u16_e32 v30, 13, v74
	v_mul_u32_u24_sdwa v58, v57, s4 dst_sel:DWORD dst_unused:UNUSED_PAD src0_sel:WORD_0 src1_sel:DWORD
	v_sub_u16_e32 v31, v80, v30
	v_mov_b32_e32 v30, 4
	v_lshrrev_b32_e32 v89, 18, v58
	v_lshlrev_b32_sdwa v75, v30, v31 dst_sel:DWORD dst_unused:UNUSED_PAD src0_sel:DWORD src1_sel:BYTE_0
	v_mul_lo_u16_e32 v31, 13, v89
	v_add_u32_e32 v56, 0x16c, v80
	v_sub_u16_e32 v31, v57, v31
	v_lshlrev_b32_e32 v90, 4, v31
	v_mul_u32_u24_sdwa v31, v56, s4 dst_sel:DWORD dst_unused:UNUSED_PAD src0_sel:WORD_0 src1_sel:DWORD
	v_lshrrev_b32_e32 v91, 18, v31
	v_mul_lo_u16_e32 v60, 13, v91
	v_add_u32_e32 v12, 0x222, v80
	v_sub_u16_e32 v60, v56, v60
	v_lshlrev_b32_e32 v92, 4, v60
	v_mul_u32_u24_sdwa v60, v12, s4 dst_sel:DWORD dst_unused:UNUSED_PAD src0_sel:WORD_0 src1_sel:DWORD
	global_load_dwordx4 v[62:65], v75, s[12:13]
	global_load_dwordx4 v[66:69], v90, s[12:13]
	v_lshrrev_b32_e32 v93, 18, v60
	v_add_u32_e32 v13, 0x2d8, v80
	v_mul_lo_u16_e32 v60, 13, v93
	v_sub_u16_e32 v12, v12, v60
	v_mul_u32_u24_sdwa v60, v13, s4 dst_sel:DWORD dst_unused:UNUSED_PAD src0_sel:WORD_0 src1_sel:DWORD
	v_lshrrev_b32_e32 v60, 18, v60
	v_lshlrev_b32_e32 v12, 4, v12
	global_load_dwordx4 v[70:73], v92, s[12:13]
	global_load_dwordx4 v[81:84], v12, s[12:13]
	v_mul_lo_u16_e32 v61, 13, v60
	v_sub_u16_e32 v13, v13, v61
	v_lshlrev_b32_e32 v61, 4, v13
	global_load_dwordx4 v[85:88], v61, s[12:13]
	v_mul_u32_u24_e32 v13, 0x1a0, v74
	v_mul_u32_u24_e32 v74, 0x1a0, v89
	;; [unrolled: 1-line block ×4, first 2 shown]
	v_add3_u32 v95, 0, v13, v75
	v_add3_u32 v98, 0, v91, v12
	v_add3_u32 v96, 0, v74, v90
	v_add3_u32 v97, 0, v89, v92
	s_load_dwordx2 s[4:5], s[2:3], 0x0
	s_waitcnt vmcnt(0) lgkmcnt(0)
	s_barrier
	v_mul_f64 v[12:13], v[42:43], v[64:65]
	v_mul_f64 v[64:65], v[40:41], v[64:65]
	;; [unrolled: 1-line block ×8, first 2 shown]
	v_fma_f64 v[12:13], v[40:41], v[62:63], v[12:13]
	v_mul_f64 v[93:94], v[46:47], v[87:88]
	v_mul_f64 v[87:88], v[44:45], v[87:88]
	v_fma_f64 v[40:41], v[42:43], v[62:63], -v[64:65]
	v_fma_f64 v[42:43], v[36:37], v[66:67], v[74:75]
	v_fma_f64 v[62:63], v[38:39], v[66:67], -v[68:69]
	v_fma_f64 v[52:53], v[52:53], v[70:71], v[89:90]
	;; [unrolled: 2-line block ×4, first 2 shown]
	v_fma_f64 v[66:67], v[46:47], v[85:86], -v[87:88]
	v_add_f64 v[36:37], v[14:15], -v[12:13]
	v_add_f64 v[38:39], v[16:17], -v[40:41]
	;; [unrolled: 1-line block ×9, first 2 shown]
	v_fma_f64 v[52:53], v[14:15], 2.0, -v[36:37]
	v_add_f64 v[14:15], v[34:35], -v[66:67]
	v_fma_f64 v[54:55], v[16:17], 2.0, -v[38:39]
	v_fma_f64 v[16:17], v[18:19], 2.0, -v[40:41]
	;; [unrolled: 1-line block ×7, first 2 shown]
	ds_write_b128 v95, v[36:39] offset:208
	ds_write_b128 v95, v[52:55]
	ds_write_b128 v96, v[16:19]
	ds_write_b128 v96, v[40:43] offset:208
	ds_write_b128 v97, v[20:23]
	ds_write_b128 v97, v[44:47] offset:208
	ds_write_b128 v98, v[24:27]
	ds_write_b128 v98, v[48:51] offset:208
	s_and_saveexec_b64 s[2:3], vcc
	s_cbranch_execz .LBB0_19
; %bb.18:
	v_fma_f64 v[18:19], v[34:35], 2.0, -v[14:15]
	v_fma_f64 v[16:17], v[32:33], 2.0, -v[12:13]
	v_mul_lo_u16_e32 v20, 26, v60
	v_lshlrev_b32_e32 v20, 4, v20
	v_add3_u32 v20, 0, v61, v20
	ds_write_b128 v20, v[16:19]
	ds_write_b128 v20, v[12:15] offset:208
.LBB0_19:
	s_or_b64 exec, exec, s[2:3]
	v_lshrrev_b16_e32 v28, 11, v59
	v_mul_lo_u16_e32 v16, 26, v28
	v_sub_u16_e32 v29, v80, v16
	v_mov_b32_e32 v16, 5
	v_lshlrev_b32_sdwa v24, v16, v29 dst_sel:DWORD dst_unused:UNUSED_PAD src0_sel:DWORD src1_sel:BYTE_0
	v_lshrrev_b32_e32 v74, 19, v58
	s_waitcnt lgkmcnt(0)
	s_barrier
	global_load_dwordx4 v[16:19], v24, s[12:13] offset:224
	global_load_dwordx4 v[20:23], v24, s[12:13] offset:208
	v_mul_lo_u16_e32 v24, 26, v74
	v_sub_u16_e32 v75, v57, v24
	v_lshlrev_b32_e32 v36, 5, v75
	v_lshrrev_b32_e32 v31, 19, v31
	global_load_dwordx4 v[24:27], v36, s[12:13] offset:224
	global_load_dwordx4 v[32:35], v36, s[12:13] offset:208
	v_mul_lo_u16_e32 v36, 26, v31
	v_sub_u16_e32 v89, v56, v36
	v_lshlrev_b32_e32 v44, 5, v89
	global_load_dwordx4 v[36:39], v44, s[12:13] offset:208
	global_load_dwordx4 v[40:43], v44, s[12:13] offset:224
	ds_read_b128 v[44:47], v245
	ds_read_b128 v[48:51], v245 offset:2912
	ds_read_b128 v[52:55], v245 offset:17472
	;; [unrolled: 1-line block ×8, first 2 shown]
	v_mul_u32_u24_e32 v28, 0x4e0, v28
	v_mul_u32_u24_e32 v74, 0x4e0, v74
	;; [unrolled: 1-line block ×3, first 2 shown]
	v_lshlrev_b32_sdwa v29, v30, v29 dst_sel:DWORD dst_unused:UNUSED_PAD src0_sel:DWORD src1_sel:BYTE_0
	v_lshlrev_b32_e32 v30, 4, v75
	v_lshlrev_b32_e32 v75, 4, v89
	v_add3_u32 v95, 0, v28, v29
	v_add3_u32 v96, 0, v74, v30
	;; [unrolled: 1-line block ×3, first 2 shown]
	s_mov_b32 s2, 0xe8584caa
	s_mov_b32 s3, 0xbfebb67a
	;; [unrolled: 1-line block ×4, first 2 shown]
	s_waitcnt vmcnt(0) lgkmcnt(0)
	s_barrier
	v_mul_f64 v[30:31], v[54:55], v[18:19]
	v_mul_f64 v[28:29], v[64:65], v[22:23]
	;; [unrolled: 1-line block ×12, first 2 shown]
	v_fma_f64 v[28:29], v[62:63], v[20:21], v[28:29]
	v_fma_f64 v[20:21], v[64:65], v[20:21], -v[22:23]
	v_fma_f64 v[22:23], v[52:53], v[16:17], v[30:31]
	v_fma_f64 v[16:17], v[54:55], v[16:17], -v[18:19]
	;; [unrolled: 2-line block ×6, first 2 shown]
	v_add_f64 v[40:41], v[44:45], v[28:29]
	v_add_f64 v[42:43], v[28:29], v[22:23]
	v_add_f64 v[52:53], v[20:21], -v[16:17]
	v_add_f64 v[54:55], v[46:47], v[20:21]
	v_add_f64 v[20:21], v[20:21], v[16:17]
	;; [unrolled: 1-line block ×6, first 2 shown]
	v_add_f64 v[58:59], v[28:29], -v[22:23]
	v_add_f64 v[28:29], v[48:49], v[18:19]
	v_add_f64 v[64:65], v[50:51], v[30:31]
	;; [unrolled: 1-line block ×3, first 2 shown]
	v_add_f64 v[81:82], v[26:27], -v[38:39]
	v_add_f64 v[83:84], v[68:69], v[26:27]
	v_add_f64 v[87:88], v[24:25], -v[36:37]
	v_add_f64 v[24:25], v[40:41], v[22:23]
	v_fma_f64 v[22:23], v[42:43], -0.5, v[44:45]
	v_add_f64 v[26:27], v[54:55], v[16:17]
	v_fma_f64 v[16:17], v[20:21], -0.5, v[46:47]
	v_add_f64 v[62:63], v[30:31], -v[34:35]
	v_add_f64 v[18:19], v[18:19], -v[32:33]
	v_fma_f64 v[20:21], v[60:61], -0.5, v[48:49]
	v_fma_f64 v[50:51], v[70:71], -0.5, v[50:51]
	;; [unrolled: 1-line block ×4, first 2 shown]
	v_add_f64 v[28:29], v[28:29], v[32:33]
	v_add_f64 v[30:31], v[64:65], v[34:35]
	;; [unrolled: 1-line block ×4, first 2 shown]
	v_fma_f64 v[36:37], v[52:53], s[2:3], v[22:23]
	v_fma_f64 v[38:39], v[58:59], s[6:7], v[16:17]
	;; [unrolled: 1-line block ×12, first 2 shown]
	ds_write_b128 v95, v[24:27]
	ds_write_b128 v95, v[36:39] offset:416
	ds_write_b128 v95, v[40:43] offset:832
	ds_write_b128 v96, v[28:31]
	ds_write_b128 v96, v[44:47] offset:416
	ds_write_b128 v96, v[48:51] offset:832
	;; [unrolled: 3-line block ×3, first 2 shown]
	s_waitcnt lgkmcnt(0)
	s_barrier
	ds_read_b128 v[28:31], v245
	ds_read_b128 v[48:51], v245 offset:3744
	ds_read_b128 v[44:47], v245 offset:7488
	;; [unrolled: 1-line block ×6, first 2 shown]
	v_cmp_gt_u32_e64 s[2:3], 52, v80
                                        ; implicit-def: $vgpr26_vgpr27
	s_and_saveexec_b64 s[6:7], s[2:3]
	s_cbranch_execz .LBB0_21
; %bb.20:
	ds_read_b128 v[16:19], v245 offset:2912
	ds_read_b128 v[20:23], v245 offset:6656
	;; [unrolled: 1-line block ×7, first 2 shown]
.LBB0_21:
	s_or_b64 exec, exec, s[6:7]
	v_lshrrev_b16_e32 v58, 1, v80
	v_and_b32_e32 v58, 0x7f, v58
	v_mul_lo_u16_e32 v58, 0xd3, v58
	v_lshrrev_b16_e32 v74, 13, v58
	v_mul_lo_u16_e32 v58, 0x4e, v74
	v_sub_u16_e32 v75, v80, v58
	v_mov_b32_e32 v58, 6
	v_mul_u32_u24_sdwa v58, v75, v58 dst_sel:DWORD dst_unused:UNUSED_PAD src0_sel:BYTE_0 src1_sel:DWORD
	v_lshlrev_b32_e32 v89, 4, v58
	global_load_dwordx4 v[58:61], v89, s[12:13] offset:1040
	global_load_dwordx4 v[62:65], v89, s[12:13] offset:1056
	;; [unrolled: 1-line block ×6, first 2 shown]
	v_mov_b32_e32 v89, 4
	v_mul_u32_u24_e32 v74, 0x2220, v74
	v_lshlrev_b32_sdwa v75, v89, v75 dst_sel:DWORD dst_unused:UNUSED_PAD src0_sel:DWORD src1_sel:BYTE_0
	v_add3_u32 v99, 0, v74, v75
	s_mov_b32 s14, 0x37e14327
	s_mov_b32 s16, 0x36b3c0b5
	;; [unrolled: 1-line block ×20, first 2 shown]
	s_waitcnt vmcnt(0) lgkmcnt(0)
	s_barrier
	v_mul_f64 v[74:75], v[50:51], v[60:61]
	v_mul_f64 v[60:61], v[48:49], v[60:61]
	;; [unrolled: 1-line block ×12, first 2 shown]
	v_fma_f64 v[48:49], v[48:49], v[58:59], v[74:75]
	v_fma_f64 v[50:51], v[50:51], v[58:59], -v[60:61]
	v_fma_f64 v[44:45], v[44:45], v[62:63], v[89:90]
	v_fma_f64 v[46:47], v[46:47], v[62:63], -v[64:65]
	v_fma_f64 v[52:53], v[52:53], v[81:82], v[95:96]
	v_fma_f64 v[54:55], v[54:55], v[81:82], -v[83:84]
	v_fma_f64 v[40:41], v[40:41], v[85:86], v[97:98]
	v_fma_f64 v[42:43], v[42:43], v[85:86], -v[87:88]
	v_fma_f64 v[36:37], v[36:37], v[66:67], v[91:92]
	v_fma_f64 v[38:39], v[38:39], v[66:67], -v[68:69]
	v_fma_f64 v[32:33], v[32:33], v[70:71], v[93:94]
	v_fma_f64 v[34:35], v[34:35], v[70:71], -v[72:73]
	v_add_f64 v[58:59], v[48:49], v[52:53]
	v_add_f64 v[60:61], v[50:51], v[54:55]
	v_add_f64 v[48:49], v[48:49], -v[52:53]
	v_add_f64 v[50:51], v[50:51], -v[54:55]
	v_add_f64 v[52:53], v[44:45], v[40:41]
	v_add_f64 v[54:55], v[46:47], v[42:43]
	v_add_f64 v[40:41], v[44:45], -v[40:41]
	v_add_f64 v[42:43], v[46:47], -v[42:43]
	;; [unrolled: 4-line block ×4, first 2 shown]
	v_add_f64 v[58:59], v[58:59], -v[44:45]
	v_add_f64 v[60:61], v[60:61], -v[46:47]
	;; [unrolled: 1-line block ×4, first 2 shown]
	v_add_f64 v[66:67], v[32:33], v[40:41]
	v_add_f64 v[68:69], v[34:35], v[42:43]
	v_add_f64 v[70:71], v[32:33], -v[40:41]
	v_add_f64 v[72:73], v[34:35], -v[42:43]
	v_add_f64 v[36:37], v[44:45], v[36:37]
	v_add_f64 v[38:39], v[46:47], v[38:39]
	v_add_f64 v[40:41], v[40:41], -v[48:49]
	v_add_f64 v[42:43], v[42:43], -v[50:51]
	;; [unrolled: 1-line block ×4, first 2 shown]
	v_add_f64 v[44:45], v[66:67], v[48:49]
	v_add_f64 v[46:47], v[68:69], v[50:51]
	v_mul_f64 v[48:49], v[58:59], s[14:15]
	v_mul_f64 v[50:51], v[60:61], s[14:15]
	;; [unrolled: 1-line block ×6, first 2 shown]
	v_add_f64 v[28:29], v[28:29], v[36:37]
	v_add_f64 v[30:31], v[30:31], v[38:39]
	v_mul_f64 v[70:71], v[40:41], s[6:7]
	v_mul_f64 v[72:73], v[42:43], s[6:7]
	v_fma_f64 v[52:53], v[52:53], s[16:17], v[48:49]
	v_fma_f64 v[54:55], v[54:55], s[16:17], v[50:51]
	v_fma_f64 v[58:59], v[62:63], s[18:19], -v[58:59]
	v_fma_f64 v[60:61], v[64:65], s[18:19], -v[60:61]
	;; [unrolled: 1-line block ×4, first 2 shown]
	v_fma_f64 v[62:63], v[32:33], s[26:27], v[66:67]
	v_fma_f64 v[64:65], v[34:35], s[26:27], v[68:69]
	;; [unrolled: 1-line block ×4, first 2 shown]
	v_fma_f64 v[32:33], v[32:33], s[28:29], -v[70:71]
	v_fma_f64 v[34:35], v[34:35], s[28:29], -v[72:73]
	;; [unrolled: 1-line block ×4, first 2 shown]
	v_fma_f64 v[62:63], v[44:45], s[22:23], v[62:63]
	v_fma_f64 v[64:65], v[46:47], s[22:23], v[64:65]
	v_add_f64 v[52:53], v[52:53], v[36:37]
	v_add_f64 v[54:55], v[54:55], v[38:39]
	v_fma_f64 v[70:71], v[44:45], s[22:23], v[32:33]
	v_fma_f64 v[72:73], v[46:47], s[22:23], v[34:35]
	v_add_f64 v[48:49], v[48:49], v[36:37]
	v_add_f64 v[50:51], v[50:51], v[38:39]
	;; [unrolled: 4-line block ×3, first 2 shown]
	v_add_f64 v[32:33], v[64:65], v[52:53]
	v_add_f64 v[34:35], v[54:55], -v[62:63]
	v_add_f64 v[36:37], v[72:73], v[48:49]
	v_add_f64 v[38:39], v[50:51], -v[70:71]
	v_add_f64 v[48:49], v[48:49], -v[72:73]
	v_add_f64 v[50:51], v[70:71], v[50:51]
	v_add_f64 v[40:41], v[44:45], -v[68:69]
	v_add_f64 v[42:43], v[66:67], v[46:47]
	v_add_f64 v[44:45], v[68:69], v[44:45]
	v_add_f64 v[46:47], v[46:47], -v[66:67]
	v_add_f64 v[52:53], v[52:53], -v[64:65]
	v_add_f64 v[54:55], v[62:63], v[54:55]
	ds_write_b128 v99, v[28:31]
	ds_write_b128 v99, v[32:35] offset:1248
	ds_write_b128 v99, v[36:39] offset:2496
	;; [unrolled: 1-line block ×6, first 2 shown]
	s_and_saveexec_b64 s[30:31], s[2:3]
	s_cbranch_execz .LBB0_23
; %bb.22:
	v_lshrrev_b16_e32 v28, 1, v57
	v_mul_u32_u24_e32 v28, 0x6907, v28
	v_lshrrev_b32_e32 v28, 20, v28
	v_mul_lo_u16_e32 v28, 0x4e, v28
	v_sub_u16_e32 v66, v57, v28
	v_mul_u32_u24_e32 v28, 6, v66
	v_lshlrev_b32_e32 v52, 4, v28
	global_load_dwordx4 v[28:31], v52, s[12:13] offset:1088
	global_load_dwordx4 v[32:35], v52, s[12:13] offset:1072
	;; [unrolled: 1-line block ×6, first 2 shown]
	s_waitcnt vmcnt(5)
	v_mul_f64 v[52:53], v[6:7], v[30:31]
	s_waitcnt vmcnt(4)
	v_mul_f64 v[54:55], v[10:11], v[34:35]
	;; [unrolled: 2-line block ×6, first 2 shown]
	v_mul_f64 v[38:39], v[12:13], v[38:39]
	v_mul_f64 v[42:43], v[0:1], v[42:43]
	;; [unrolled: 1-line block ×6, first 2 shown]
	v_fma_f64 v[4:5], v[4:5], v[28:29], v[52:53]
	v_fma_f64 v[8:9], v[8:9], v[32:33], v[54:55]
	;; [unrolled: 1-line block ×6, first 2 shown]
	v_fma_f64 v[14:15], v[14:15], v[36:37], -v[38:39]
	v_fma_f64 v[2:3], v[2:3], v[40:41], -v[42:43]
	;; [unrolled: 1-line block ×6, first 2 shown]
	v_add_f64 v[28:29], v[4:5], -v[8:9]
	v_add_f64 v[30:31], v[12:13], -v[0:1]
	v_add_f64 v[4:5], v[8:9], v[4:5]
	v_add_f64 v[36:37], v[14:15], v[2:3]
	;; [unrolled: 1-line block ×5, first 2 shown]
	v_add_f64 v[32:33], v[20:21], -v[24:25]
	v_add_f64 v[34:35], v[10:11], v[6:7]
	v_add_f64 v[6:7], v[6:7], -v[10:11]
	v_add_f64 v[2:3], v[14:15], -v[2:3]
	;; [unrolled: 1-line block ×3, first 2 shown]
	v_add_f64 v[12:13], v[28:29], v[30:31]
	v_add_f64 v[26:27], v[36:37], v[38:39]
	;; [unrolled: 1-line block ×3, first 2 shown]
	v_add_f64 v[14:15], v[28:29], -v[30:31]
	v_add_f64 v[20:21], v[32:33], -v[28:29]
	;; [unrolled: 1-line block ×6, first 2 shown]
	v_add_f64 v[44:45], v[6:7], v[2:3]
	v_add_f64 v[46:47], v[6:7], -v[2:3]
	v_add_f64 v[30:31], v[30:31], -v[32:33]
	v_add_f64 v[26:27], v[34:35], v[26:27]
	v_add_f64 v[4:5], v[4:5], v[42:43]
	v_add_f64 v[36:37], v[36:37], -v[38:39]
	v_add_f64 v[38:39], v[2:3], -v[10:11]
	v_add_f64 v[6:7], v[10:11], -v[6:7]
	v_add_f64 v[8:9], v[0:1], -v[8:9]
	v_add_f64 v[12:13], v[12:13], v[32:33]
	v_mul_f64 v[14:15], v[14:15], s[20:21]
	v_mul_f64 v[32:33], v[22:23], s[16:17]
	;; [unrolled: 1-line block ×4, first 2 shown]
	v_add_f64 v[10:11], v[44:45], v[10:11]
	v_mul_f64 v[42:43], v[46:47], s[20:21]
	v_mul_f64 v[44:45], v[30:31], s[6:7]
	v_add_f64 v[2:3], v[18:19], v[26:27]
	v_add_f64 v[0:1], v[16:17], v[4:5]
	v_mul_f64 v[46:47], v[38:39], s[6:7]
	v_mul_f64 v[34:35], v[28:29], s[16:17]
	v_fma_f64 v[48:49], v[20:21], s[26:27], v[14:15]
	v_fma_f64 v[22:23], v[22:23], s[16:17], v[24:25]
	;; [unrolled: 1-line block ×4, first 2 shown]
	v_fma_f64 v[20:21], v[20:21], s[28:29], -v[44:45]
	v_fma_f64 v[24:25], v[36:37], s[24:25], -v[24:25]
	;; [unrolled: 1-line block ×4, first 2 shown]
	v_fma_f64 v[26:27], v[26:27], s[8:9], v[2:3]
	v_fma_f64 v[4:5], v[4:5], s[8:9], v[0:1]
	v_fma_f64 v[28:29], v[8:9], s[24:25], -v[40:41]
	v_fma_f64 v[6:7], v[6:7], s[28:29], -v[46:47]
	;; [unrolled: 1-line block ×4, first 2 shown]
	v_fma_f64 v[34:35], v[12:13], s[22:23], v[48:49]
	v_fma_f64 v[36:37], v[10:11], s[22:23], v[16:17]
	;; [unrolled: 1-line block ×4, first 2 shown]
	v_add_f64 v[20:21], v[22:23], v[26:27]
	v_add_f64 v[22:23], v[24:25], v[26:27]
	;; [unrolled: 1-line block ×4, first 2 shown]
	v_fma_f64 v[32:33], v[10:11], s[22:23], v[6:7]
	v_add_f64 v[28:29], v[28:29], v[4:5]
	v_fma_f64 v[30:31], v[10:11], s[22:23], v[30:31]
	v_add_f64 v[4:5], v[8:9], v[4:5]
	v_add_f64 v[26:27], v[20:21], -v[34:35]
	v_add_f64 v[6:7], v[34:35], v[20:21]
	v_add_f64 v[14:15], v[24:25], -v[12:13]
	v_add_f64 v[18:19], v[12:13], v[24:25]
	v_add_f64 v[24:25], v[36:37], v[38:39]
	;; [unrolled: 1-line block ×3, first 2 shown]
	v_add_f64 v[22:23], v[22:23], -v[16:17]
	v_add_f64 v[20:21], v[32:33], v[28:29]
	v_add_f64 v[16:17], v[4:5], -v[30:31]
	v_add_f64 v[12:13], v[30:31], v[4:5]
	v_add_f64 v[8:9], v[28:29], -v[32:33]
	v_add_f64 v[4:5], v[38:39], -v[36:37]
	v_lshl_add_u32 v28, v66, 4, 0
	ds_write_b128 v28, v[0:3] offset:17472
	ds_write_b128 v28, v[24:27] offset:18720
	ds_write_b128 v28, v[20:23] offset:19968
	ds_write_b128 v28, v[16:19] offset:21216
	ds_write_b128 v28, v[12:15] offset:22464
	ds_write_b128 v28, v[8:11] offset:23712
	ds_write_b128 v28, v[4:7] offset:24960
.LBB0_23:
	s_or_b64 exec, exec, s[30:31]
	v_lshlrev_b32_e32 v0, 1, v80
	v_mov_b32_e32 v1, 0
	v_lshlrev_b64 v[2:3], 4, v[0:1]
	v_mov_b32_e32 v22, s13
	v_add_co_u32_e64 v0, s[2:3], s12, v2
	v_addc_co_u32_e64 v2, s[2:3], v22, v3, s[2:3]
	s_movk_i32 s6, 0x2150
	v_add_co_u32_e64 v10, s[2:3], s6, v0
	v_addc_co_u32_e64 v11, s[2:3], 0, v2, s[2:3]
	s_movk_i32 s7, 0x2000
	v_add_co_u32_e64 v12, s[2:3], s7, v0
	v_addc_co_u32_e64 v13, s[2:3], 0, v2, s[2:3]
	v_lshlrev_b32_e32 v0, 1, v57
	s_waitcnt lgkmcnt(0)
	s_barrier
	global_load_dwordx4 v[2:5], v[12:13], off offset:336
	global_load_dwordx4 v[6:9], v[10:11], off offset:16
	v_lshlrev_b64 v[10:11], 4, v[0:1]
	s_add_u32 s8, s12, 0x6590
	v_add_co_u32_e64 v0, s[2:3], s12, v10
	v_addc_co_u32_e64 v10, s[2:3], v22, v11, s[2:3]
	v_add_co_u32_e64 v18, s[2:3], s6, v0
	v_addc_co_u32_e64 v19, s[2:3], 0, v10, s[2:3]
	;; [unrolled: 2-line block ×3, first 2 shown]
	v_lshlrev_b32_e32 v0, 1, v56
	global_load_dwordx4 v[10:13], v[20:21], off offset:336
	global_load_dwordx4 v[14:17], v[18:19], off offset:16
	v_lshlrev_b64 v[18:19], 4, v[0:1]
	s_addc_u32 s9, s13, 0
	v_add_co_u32_e64 v0, s[2:3], s12, v18
	v_addc_co_u32_e64 v23, s[2:3], v22, v19, s[2:3]
	v_add_co_u32_e64 v18, s[2:3], s7, v0
	v_addc_co_u32_e64 v19, s[2:3], 0, v23, s[2:3]
	;; [unrolled: 2-line block ×3, first 2 shown]
	global_load_dwordx4 v[18:21], v[18:19], off offset:336
	s_mov_b32 s2, 0xe8584caa
	global_load_dwordx4 v[22:25], v[22:23], off offset:16
	ds_read_b128 v[26:29], v245
	ds_read_b128 v[30:33], v245 offset:2912
	ds_read_b128 v[34:37], v245 offset:17472
	;; [unrolled: 1-line block ×8, first 2 shown]
	s_mov_b32 s3, 0xbfebb67a
	s_mov_b32 s7, 0x3febb67a
	;; [unrolled: 1-line block ×3, first 2 shown]
	s_waitcnt vmcnt(0) lgkmcnt(0)
	s_barrier
	v_lshlrev_b32_e32 v0, 4, v80
	v_mul_f64 v[62:63], v[44:45], v[4:5]
	v_mul_f64 v[4:5], v[42:43], v[4:5]
	v_mul_f64 v[64:65], v[36:37], v[8:9]
	v_mul_f64 v[8:9], v[34:35], v[8:9]
	v_fma_f64 v[42:43], v[42:43], v[2:3], v[62:63]
	v_fma_f64 v[2:3], v[44:45], v[2:3], -v[4:5]
	v_fma_f64 v[4:5], v[34:35], v[6:7], v[64:65]
	v_fma_f64 v[6:7], v[36:37], v[6:7], -v[8:9]
	v_mul_f64 v[66:67], v[52:53], v[12:13]
	v_mul_f64 v[12:13], v[50:51], v[12:13]
	;; [unrolled: 1-line block ×4, first 2 shown]
	v_fma_f64 v[8:9], v[50:51], v[10:11], v[66:67]
	v_fma_f64 v[10:11], v[52:53], v[10:11], -v[12:13]
	v_fma_f64 v[12:13], v[38:39], v[14:15], v[68:69]
	v_fma_f64 v[34:35], v[40:41], v[14:15], -v[16:17]
	v_add_f64 v[16:17], v[42:43], v[4:5]
	v_add_f64 v[14:15], v[26:27], v[42:43]
	v_mul_f64 v[70:71], v[56:57], v[20:21]
	v_mul_f64 v[20:21], v[54:55], v[20:21]
	;; [unrolled: 1-line block ×4, first 2 shown]
	v_add_f64 v[44:45], v[8:9], v[12:13]
	v_add_f64 v[50:51], v[10:11], -v[34:35]
	v_add_f64 v[52:53], v[32:33], v[10:11]
	v_add_f64 v[10:11], v[10:11], v[34:35]
	v_fma_f64 v[36:37], v[54:55], v[18:19], v[70:71]
	v_fma_f64 v[20:21], v[56:57], v[18:19], -v[20:21]
	v_fma_f64 v[38:39], v[58:59], v[22:23], v[72:73]
	v_fma_f64 v[40:41], v[60:61], v[22:23], -v[24:25]
	v_add_f64 v[18:19], v[2:3], -v[6:7]
	v_add_f64 v[22:23], v[28:29], v[2:3]
	v_add_f64 v[2:3], v[2:3], v[6:7]
	v_add_f64 v[24:25], v[42:43], -v[4:5]
	v_add_f64 v[42:43], v[30:31], v[8:9]
	v_add_f64 v[54:55], v[8:9], -v[12:13]
	v_add_f64 v[8:9], v[36:37], v[38:39]
	v_fma_f64 v[16:17], v[16:17], -0.5, v[26:27]
	v_add_f64 v[26:27], v[20:21], v[40:41]
	v_fma_f64 v[30:31], v[44:45], -0.5, v[30:31]
	v_fma_f64 v[28:29], v[2:3], -0.5, v[28:29]
	;; [unrolled: 1-line block ×3, first 2 shown]
	v_add_f64 v[2:3], v[14:15], v[4:5]
	v_add_f64 v[4:5], v[22:23], v[6:7]
	v_add_f64 v[6:7], v[42:43], v[12:13]
	v_fma_f64 v[10:11], v[18:19], s[2:3], v[16:17]
	v_fma_f64 v[14:15], v[18:19], s[6:7], v[16:17]
	v_fma_f64 v[42:43], v[8:9], -0.5, v[46:47]
	v_fma_f64 v[12:13], v[24:25], s[6:7], v[28:29]
	v_fma_f64 v[16:17], v[24:25], s[2:3], v[28:29]
	v_add_f64 v[28:29], v[46:47], v[36:37]
	v_add_f64 v[46:47], v[48:49], v[20:21]
	v_add_f64 v[44:45], v[20:21], -v[40:41]
	v_fma_f64 v[48:49], v[26:27], -0.5, v[48:49]
	v_add_f64 v[36:37], v[36:37], -v[38:39]
	v_add_f64 v[8:9], v[52:53], v[34:35]
	v_fma_f64 v[18:19], v[50:51], s[2:3], v[30:31]
	v_fma_f64 v[20:21], v[54:55], s[6:7], v[32:33]
	v_fma_f64 v[22:23], v[50:51], s[6:7], v[30:31]
	v_fma_f64 v[24:25], v[54:55], s[2:3], v[32:33]
	v_add_f64 v[26:27], v[28:29], v[38:39]
	v_add_f64 v[28:29], v[46:47], v[40:41]
	v_fma_f64 v[30:31], v[44:45], s[2:3], v[42:43]
	v_fma_f64 v[32:33], v[36:37], s[6:7], v[48:49]
	v_fma_f64 v[34:35], v[44:45], s[6:7], v[42:43]
	v_fma_f64 v[36:37], v[36:37], s[2:3], v[48:49]
	ds_write_b128 v245, v[2:5]
	ds_write_b128 v245, v[10:13] offset:8736
	ds_write_b128 v245, v[14:17] offset:17472
	;; [unrolled: 1-line block ×8, first 2 shown]
	s_waitcnt lgkmcnt(0)
	s_barrier
	ds_read_b128 v[4:7], v245
	v_sub_u32_e32 v12, 0, v0
	v_cmp_ne_u32_e64 s[2:3], 0, v80
                                        ; implicit-def: $vgpr2_vgpr3
                                        ; implicit-def: $vgpr8_vgpr9
                                        ; implicit-def: $vgpr10_vgpr11
	s_and_saveexec_b64 s[6:7], s[2:3]
	s_xor_b64 s[6:7], exec, s[6:7]
	s_cbranch_execz .LBB0_25
; %bb.24:
	v_mov_b32_e32 v81, v1
	v_lshlrev_b64 v[0:1], 4, v[80:81]
	v_mov_b32_e32 v2, s9
	v_add_co_u32_e64 v0, s[2:3], s8, v0
	v_addc_co_u32_e64 v1, s[2:3], v2, v1, s[2:3]
	global_load_dwordx4 v[0:3], v[0:1], off
	ds_read_b128 v[8:11], v12 offset:26208
	s_waitcnt lgkmcnt(0)
	v_add_f64 v[13:14], v[4:5], -v[8:9]
	v_add_f64 v[15:16], v[6:7], v[10:11]
	v_add_f64 v[6:7], v[6:7], -v[10:11]
	v_add_f64 v[4:5], v[4:5], v[8:9]
	v_mul_f64 v[10:11], v[13:14], 0.5
	v_mul_f64 v[13:14], v[15:16], 0.5
	;; [unrolled: 1-line block ×3, first 2 shown]
	s_waitcnt vmcnt(0)
	v_mul_f64 v[8:9], v[10:11], v[2:3]
	v_fma_f64 v[15:16], v[13:14], v[2:3], v[6:7]
	v_fma_f64 v[2:3], v[13:14], v[2:3], -v[6:7]
	v_fma_f64 v[17:18], v[4:5], 0.5, v[8:9]
	v_fma_f64 v[4:5], v[4:5], 0.5, -v[8:9]
	v_fma_f64 v[8:9], -v[0:1], v[10:11], v[15:16]
	v_fma_f64 v[2:3], -v[0:1], v[10:11], v[2:3]
	v_mov_b32_e32 v10, v80
	v_mov_b32_e32 v11, v81
	v_fma_f64 v[6:7], v[13:14], v[0:1], v[17:18]
	v_fma_f64 v[0:1], -v[13:14], v[0:1], v[4:5]
                                        ; implicit-def: $vgpr4_vgpr5
	ds_write_b64 v245, v[6:7]
.LBB0_25:
	s_andn2_saveexec_b64 s[2:3], s[6:7]
	s_cbranch_execz .LBB0_27
; %bb.26:
	s_waitcnt lgkmcnt(0)
	v_add_f64 v[2:3], v[4:5], v[6:7]
	v_mov_b32_e32 v15, 0
	ds_read_b64 v[13:14], v15 offset:13112
	v_add_f64 v[0:1], v[4:5], -v[6:7]
	v_mov_b32_e32 v8, 0
	v_mov_b32_e32 v10, 0
	;; [unrolled: 1-line block ×3, first 2 shown]
	s_waitcnt lgkmcnt(0)
	v_xor_b32_e32 v14, 0x80000000, v14
	ds_write_b64 v15, v[13:14] offset:13112
	ds_write_b64 v245, v[2:3]
	v_mov_b32_e32 v2, v8
	v_mov_b32_e32 v11, 0
	;; [unrolled: 1-line block ×3, first 2 shown]
.LBB0_27:
	s_or_b64 exec, exec, s[2:3]
	s_waitcnt lgkmcnt(0)
	v_lshlrev_b64 v[4:5], 4, v[10:11]
	v_mov_b32_e32 v6, s9
	v_add_co_u32_e64 v17, s[2:3], s8, v4
	v_addc_co_u32_e64 v18, s[2:3], v6, v5, s[2:3]
	global_load_dwordx4 v[4:7], v[17:18], off offset:2912
	s_movk_i32 s2, 0x1000
	v_add_co_u32_e64 v10, s[2:3], s2, v17
	v_addc_co_u32_e64 v11, s[2:3], 0, v18, s[2:3]
	global_load_dwordx4 v[13:16], v[10:11], off offset:1728
	ds_write_b64 v245, v[8:9] offset:8
	ds_write_b128 v12, v[0:3] offset:26208
	ds_read_b128 v[0:3], v245 offset:2912
	ds_read_b128 v[8:11], v12 offset:23296
	s_movk_i32 s2, 0x2000
	s_waitcnt lgkmcnt(0)
	v_add_f64 v[19:20], v[0:1], -v[8:9]
	v_add_f64 v[21:22], v[2:3], v[10:11]
	v_add_f64 v[2:3], v[2:3], -v[10:11]
	v_add_f64 v[0:1], v[0:1], v[8:9]
	v_mul_f64 v[10:11], v[19:20], 0.5
	v_mul_f64 v[21:22], v[21:22], 0.5
	;; [unrolled: 1-line block ×3, first 2 shown]
	s_waitcnt vmcnt(1)
	v_mul_f64 v[8:9], v[10:11], v[6:7]
	v_fma_f64 v[19:20], v[21:22], v[6:7], v[2:3]
	v_fma_f64 v[2:3], v[21:22], v[6:7], -v[2:3]
	v_fma_f64 v[25:26], v[0:1], 0.5, v[8:9]
	v_fma_f64 v[27:28], v[0:1], 0.5, -v[8:9]
	v_add_co_u32_e64 v0, s[2:3], s2, v17
	v_addc_co_u32_e64 v1, s[2:3], 0, v18, s[2:3]
	global_load_dwordx4 v[6:9], v[0:1], off offset:544
	v_fma_f64 v[19:20], -v[4:5], v[10:11], v[19:20]
	v_fma_f64 v[17:18], v[21:22], v[4:5], v[25:26]
	v_fma_f64 v[23:24], -v[4:5], v[10:11], v[2:3]
	v_fma_f64 v[21:22], -v[21:22], v[4:5], v[27:28]
	ds_write_b128 v245, v[17:20] offset:2912
	ds_write_b128 v12, v[21:24] offset:23296
	ds_read_b128 v[2:5], v245 offset:5824
	ds_read_b128 v[17:20], v12 offset:20384
	s_waitcnt lgkmcnt(0)
	v_add_f64 v[10:11], v[2:3], -v[17:18]
	v_add_f64 v[21:22], v[4:5], v[19:20]
	v_add_f64 v[4:5], v[4:5], -v[19:20]
	v_add_f64 v[2:3], v[2:3], v[17:18]
	v_mul_f64 v[10:11], v[10:11], 0.5
	v_mul_f64 v[19:20], v[21:22], 0.5
	;; [unrolled: 1-line block ×3, first 2 shown]
	s_waitcnt vmcnt(1)
	v_mul_f64 v[17:18], v[10:11], v[15:16]
	v_fma_f64 v[21:22], v[19:20], v[15:16], v[4:5]
	v_fma_f64 v[15:16], v[19:20], v[15:16], -v[4:5]
	v_fma_f64 v[23:24], v[2:3], 0.5, v[17:18]
	v_fma_f64 v[17:18], v[2:3], 0.5, -v[17:18]
	v_fma_f64 v[4:5], -v[13:14], v[10:11], v[21:22]
	v_fma_f64 v[15:16], -v[13:14], v[10:11], v[15:16]
	v_fma_f64 v[2:3], v[19:20], v[13:14], v[23:24]
	v_fma_f64 v[13:14], -v[19:20], v[13:14], v[17:18]
	ds_write_b128 v245, v[2:5] offset:5824
	ds_write_b128 v12, v[13:16] offset:20384
	ds_read_b128 v[2:5], v245 offset:8736
	ds_read_b128 v[13:16], v12 offset:17472
	s_waitcnt lgkmcnt(0)
	v_add_f64 v[10:11], v[2:3], -v[13:14]
	v_add_f64 v[17:18], v[4:5], v[15:16]
	v_add_f64 v[4:5], v[4:5], -v[15:16]
	v_add_f64 v[2:3], v[2:3], v[13:14]
	v_mul_f64 v[10:11], v[10:11], 0.5
	v_mul_f64 v[15:16], v[17:18], 0.5
	;; [unrolled: 1-line block ×3, first 2 shown]
	s_waitcnt vmcnt(0)
	v_mul_f64 v[13:14], v[10:11], v[8:9]
	v_fma_f64 v[17:18], v[15:16], v[8:9], v[4:5]
	v_fma_f64 v[8:9], v[15:16], v[8:9], -v[4:5]
	v_fma_f64 v[19:20], v[2:3], 0.5, v[13:14]
	v_fma_f64 v[13:14], v[2:3], 0.5, -v[13:14]
	v_fma_f64 v[4:5], -v[6:7], v[10:11], v[17:18]
	v_fma_f64 v[8:9], -v[6:7], v[10:11], v[8:9]
	v_fma_f64 v[2:3], v[15:16], v[6:7], v[19:20]
	v_fma_f64 v[6:7], -v[15:16], v[6:7], v[13:14]
	ds_write_b128 v245, v[2:5] offset:8736
	ds_write_b128 v12, v[6:9] offset:17472
	s_and_saveexec_b64 s[2:3], vcc
	s_cbranch_execz .LBB0_29
; %bb.28:
	global_load_dwordx4 v[0:3], v[0:1], off offset:3456
	ds_read_b128 v[4:7], v245 offset:11648
	ds_read_b128 v[8:11], v12 offset:14560
	s_waitcnt lgkmcnt(0)
	v_add_f64 v[13:14], v[4:5], -v[8:9]
	v_add_f64 v[15:16], v[6:7], v[10:11]
	v_add_f64 v[6:7], v[6:7], -v[10:11]
	v_add_f64 v[4:5], v[4:5], v[8:9]
	v_mul_f64 v[10:11], v[13:14], 0.5
	v_mul_f64 v[13:14], v[15:16], 0.5
	;; [unrolled: 1-line block ×3, first 2 shown]
	s_waitcnt vmcnt(0)
	v_mul_f64 v[8:9], v[10:11], v[2:3]
	v_fma_f64 v[15:16], v[13:14], v[2:3], v[6:7]
	v_fma_f64 v[2:3], v[13:14], v[2:3], -v[6:7]
	v_fma_f64 v[6:7], v[4:5], 0.5, v[8:9]
	v_fma_f64 v[17:18], v[4:5], 0.5, -v[8:9]
	v_fma_f64 v[4:5], -v[0:1], v[10:11], v[15:16]
	v_fma_f64 v[8:9], -v[0:1], v[10:11], v[2:3]
	v_fma_f64 v[2:3], v[13:14], v[0:1], v[6:7]
	v_fma_f64 v[6:7], -v[13:14], v[0:1], v[17:18]
	ds_write_b128 v245, v[2:5] offset:11648
	ds_write_b128 v12, v[6:9] offset:14560
.LBB0_29:
	s_or_b64 exec, exec, s[2:3]
	s_waitcnt lgkmcnt(0)
	s_barrier
	s_and_saveexec_b64 s[2:3], s[0:1]
	s_cbranch_execz .LBB0_32
; %bb.30:
	v_mul_lo_u32 v2, s5, v78
	v_mul_lo_u32 v3, s4, v79
	v_mad_u64_u32 v[0:1], s[0:1], s4, v78, 0
	v_mov_b32_e32 v6, s11
	v_lshl_add_u32 v12, v80, 4, 0
	v_add3_u32 v1, v1, v3, v2
	v_lshlrev_b64 v[0:1], 4, v[0:1]
	v_mov_b32_e32 v81, 0
	v_add_co_u32_e32 v0, vcc, s10, v0
	v_addc_co_u32_e32 v8, vcc, v6, v1, vcc
	v_lshlrev_b64 v[6:7], 4, v[76:77]
	ds_read_b128 v[2:5], v12
	v_add_co_u32_e32 v1, vcc, v0, v6
	v_addc_co_u32_e32 v0, vcc, v8, v7, vcc
	v_lshlrev_b64 v[6:7], 4, v[80:81]
	s_movk_i32 s0, 0xb5
	v_add_co_u32_e32 v10, vcc, v1, v6
	v_addc_co_u32_e32 v11, vcc, v0, v7, vcc
	ds_read_b128 v[6:9], v12 offset:2912
	s_waitcnt lgkmcnt(1)
	global_store_dwordx4 v[10:11], v[2:5], off
	s_nop 0
	v_add_u32_e32 v2, 0xb6, v80
	v_mov_b32_e32 v3, v81
	v_lshlrev_b64 v[2:3], 4, v[2:3]
	v_add_co_u32_e32 v2, vcc, v1, v2
	v_addc_co_u32_e32 v3, vcc, v0, v3, vcc
	s_waitcnt lgkmcnt(0)
	global_store_dwordx4 v[2:3], v[6:9], off
	ds_read_b128 v[2:5], v12 offset:5824
	v_add_u32_e32 v6, 0x16c, v80
	v_mov_b32_e32 v7, v81
	v_lshlrev_b64 v[6:7], 4, v[6:7]
	v_add_co_u32_e32 v10, vcc, v1, v6
	v_addc_co_u32_e32 v11, vcc, v0, v7, vcc
	ds_read_b128 v[6:9], v12 offset:8736
	s_waitcnt lgkmcnt(1)
	global_store_dwordx4 v[10:11], v[2:5], off
	s_nop 0
	v_add_u32_e32 v2, 0x222, v80
	v_mov_b32_e32 v3, v81
	v_lshlrev_b64 v[2:3], 4, v[2:3]
	v_add_co_u32_e32 v2, vcc, v1, v2
	v_addc_co_u32_e32 v3, vcc, v0, v3, vcc
	s_waitcnt lgkmcnt(0)
	global_store_dwordx4 v[2:3], v[6:9], off
	ds_read_b128 v[2:5], v12 offset:11648
	v_add_u32_e32 v6, 0x2d8, v80
	v_mov_b32_e32 v7, v81
	v_lshlrev_b64 v[6:7], 4, v[6:7]
	v_add_co_u32_e32 v10, vcc, v1, v6
	v_addc_co_u32_e32 v11, vcc, v0, v7, vcc
	ds_read_b128 v[6:9], v12 offset:14560
	s_waitcnt lgkmcnt(1)
	global_store_dwordx4 v[10:11], v[2:5], off
	s_nop 0
	v_add_u32_e32 v2, 0x38e, v80
	v_mov_b32_e32 v3, v81
	v_lshlrev_b64 v[2:3], 4, v[2:3]
	v_add_co_u32_e32 v2, vcc, v1, v2
	v_addc_co_u32_e32 v3, vcc, v0, v3, vcc
	s_waitcnt lgkmcnt(0)
	global_store_dwordx4 v[2:3], v[6:9], off
	ds_read_b128 v[2:5], v12 offset:17472
	v_add_u32_e32 v6, 0x444, v80
	v_mov_b32_e32 v7, v81
	v_lshlrev_b64 v[6:7], 4, v[6:7]
	v_add_co_u32_e32 v10, vcc, v1, v6
	v_addc_co_u32_e32 v11, vcc, v0, v7, vcc
	ds_read_b128 v[6:9], v12 offset:20384
	s_waitcnt lgkmcnt(1)
	global_store_dwordx4 v[10:11], v[2:5], off
	s_nop 0
	v_add_u32_e32 v2, 0x4fa, v80
	v_mov_b32_e32 v3, v81
	v_lshlrev_b64 v[2:3], 4, v[2:3]
	v_add_co_u32_e32 v2, vcc, v1, v2
	v_addc_co_u32_e32 v3, vcc, v0, v3, vcc
	s_waitcnt lgkmcnt(0)
	global_store_dwordx4 v[2:3], v[6:9], off
	ds_read_b128 v[2:5], v12 offset:23296
	v_add_u32_e32 v6, 0x5b0, v80
	v_mov_b32_e32 v7, v81
	v_lshlrev_b64 v[6:7], 4, v[6:7]
	v_add_co_u32_e32 v6, vcc, v1, v6
	v_addc_co_u32_e32 v7, vcc, v0, v7, vcc
	v_cmp_eq_u32_e32 vcc, s0, v80
	s_waitcnt lgkmcnt(0)
	global_store_dwordx4 v[6:7], v[2:5], off
	s_and_b64 exec, exec, vcc
	s_cbranch_execz .LBB0_32
; %bb.31:
	ds_read_b128 v[2:5], v81 offset:26208
	v_add_co_u32_e32 v6, vcc, 0x6000, v1
	v_addc_co_u32_e32 v7, vcc, 0, v0, vcc
	s_waitcnt lgkmcnt(0)
	global_store_dwordx4 v[6:7], v[2:5], off offset:1632
.LBB0_32:
	s_endpgm
	.section	.rodata,"a",@progbits
	.p2align	6, 0x0
	.amdhsa_kernel fft_rtc_back_len1638_factors_13_2_3_7_3_wgs_182_tpt_182_halfLds_dp_op_CI_CI_unitstride_sbrr_R2C_dirReg
		.amdhsa_group_segment_fixed_size 0
		.amdhsa_private_segment_fixed_size 36
		.amdhsa_kernarg_size 104
		.amdhsa_user_sgpr_count 6
		.amdhsa_user_sgpr_private_segment_buffer 1
		.amdhsa_user_sgpr_dispatch_ptr 0
		.amdhsa_user_sgpr_queue_ptr 0
		.amdhsa_user_sgpr_kernarg_segment_ptr 1
		.amdhsa_user_sgpr_dispatch_id 0
		.amdhsa_user_sgpr_flat_scratch_init 0
		.amdhsa_user_sgpr_private_segment_size 0
		.amdhsa_uses_dynamic_stack 0
		.amdhsa_system_sgpr_private_segment_wavefront_offset 1
		.amdhsa_system_sgpr_workgroup_id_x 1
		.amdhsa_system_sgpr_workgroup_id_y 0
		.amdhsa_system_sgpr_workgroup_id_z 0
		.amdhsa_system_sgpr_workgroup_info 0
		.amdhsa_system_vgpr_workitem_id 0
		.amdhsa_next_free_vgpr 256
		.amdhsa_next_free_sgpr 52
		.amdhsa_reserve_vcc 1
		.amdhsa_reserve_flat_scratch 0
		.amdhsa_float_round_mode_32 0
		.amdhsa_float_round_mode_16_64 0
		.amdhsa_float_denorm_mode_32 3
		.amdhsa_float_denorm_mode_16_64 3
		.amdhsa_dx10_clamp 1
		.amdhsa_ieee_mode 1
		.amdhsa_fp16_overflow 0
		.amdhsa_exception_fp_ieee_invalid_op 0
		.amdhsa_exception_fp_denorm_src 0
		.amdhsa_exception_fp_ieee_div_zero 0
		.amdhsa_exception_fp_ieee_overflow 0
		.amdhsa_exception_fp_ieee_underflow 0
		.amdhsa_exception_fp_ieee_inexact 0
		.amdhsa_exception_int_div_zero 0
	.end_amdhsa_kernel
	.text
.Lfunc_end0:
	.size	fft_rtc_back_len1638_factors_13_2_3_7_3_wgs_182_tpt_182_halfLds_dp_op_CI_CI_unitstride_sbrr_R2C_dirReg, .Lfunc_end0-fft_rtc_back_len1638_factors_13_2_3_7_3_wgs_182_tpt_182_halfLds_dp_op_CI_CI_unitstride_sbrr_R2C_dirReg
                                        ; -- End function
	.section	.AMDGPU.csdata,"",@progbits
; Kernel info:
; codeLenInByte = 12752
; NumSgprs: 56
; NumVgprs: 256
; ScratchSize: 36
; MemoryBound: 0
; FloatMode: 240
; IeeeMode: 1
; LDSByteSize: 0 bytes/workgroup (compile time only)
; SGPRBlocks: 6
; VGPRBlocks: 63
; NumSGPRsForWavesPerEU: 56
; NumVGPRsForWavesPerEU: 256
; Occupancy: 1
; WaveLimiterHint : 1
; COMPUTE_PGM_RSRC2:SCRATCH_EN: 1
; COMPUTE_PGM_RSRC2:USER_SGPR: 6
; COMPUTE_PGM_RSRC2:TRAP_HANDLER: 0
; COMPUTE_PGM_RSRC2:TGID_X_EN: 1
; COMPUTE_PGM_RSRC2:TGID_Y_EN: 0
; COMPUTE_PGM_RSRC2:TGID_Z_EN: 0
; COMPUTE_PGM_RSRC2:TIDIG_COMP_CNT: 0
	.type	__hip_cuid_47ad2abf2aad2571,@object ; @__hip_cuid_47ad2abf2aad2571
	.section	.bss,"aw",@nobits
	.globl	__hip_cuid_47ad2abf2aad2571
__hip_cuid_47ad2abf2aad2571:
	.byte	0                               ; 0x0
	.size	__hip_cuid_47ad2abf2aad2571, 1

	.ident	"AMD clang version 19.0.0git (https://github.com/RadeonOpenCompute/llvm-project roc-6.4.0 25133 c7fe45cf4b819c5991fe208aaa96edf142730f1d)"
	.section	".note.GNU-stack","",@progbits
	.addrsig
	.addrsig_sym __hip_cuid_47ad2abf2aad2571
	.amdgpu_metadata
---
amdhsa.kernels:
  - .args:
      - .actual_access:  read_only
        .address_space:  global
        .offset:         0
        .size:           8
        .value_kind:     global_buffer
      - .offset:         8
        .size:           8
        .value_kind:     by_value
      - .actual_access:  read_only
        .address_space:  global
        .offset:         16
        .size:           8
        .value_kind:     global_buffer
      - .actual_access:  read_only
        .address_space:  global
        .offset:         24
        .size:           8
        .value_kind:     global_buffer
      - .actual_access:  read_only
        .address_space:  global
        .offset:         32
        .size:           8
        .value_kind:     global_buffer
      - .offset:         40
        .size:           8
        .value_kind:     by_value
      - .actual_access:  read_only
        .address_space:  global
        .offset:         48
        .size:           8
        .value_kind:     global_buffer
      - .actual_access:  read_only
        .address_space:  global
        .offset:         56
        .size:           8
        .value_kind:     global_buffer
      - .offset:         64
        .size:           4
        .value_kind:     by_value
      - .actual_access:  read_only
        .address_space:  global
        .offset:         72
        .size:           8
        .value_kind:     global_buffer
      - .actual_access:  read_only
        .address_space:  global
        .offset:         80
        .size:           8
        .value_kind:     global_buffer
      - .actual_access:  read_only
        .address_space:  global
        .offset:         88
        .size:           8
        .value_kind:     global_buffer
      - .actual_access:  write_only
        .address_space:  global
        .offset:         96
        .size:           8
        .value_kind:     global_buffer
    .group_segment_fixed_size: 0
    .kernarg_segment_align: 8
    .kernarg_segment_size: 104
    .language:       OpenCL C
    .language_version:
      - 2
      - 0
    .max_flat_workgroup_size: 182
    .name:           fft_rtc_back_len1638_factors_13_2_3_7_3_wgs_182_tpt_182_halfLds_dp_op_CI_CI_unitstride_sbrr_R2C_dirReg
    .private_segment_fixed_size: 36
    .sgpr_count:     56
    .sgpr_spill_count: 0
    .symbol:         fft_rtc_back_len1638_factors_13_2_3_7_3_wgs_182_tpt_182_halfLds_dp_op_CI_CI_unitstride_sbrr_R2C_dirReg.kd
    .uniform_work_group_size: 1
    .uses_dynamic_stack: false
    .vgpr_count:     256
    .vgpr_spill_count: 8
    .wavefront_size: 64
amdhsa.target:   amdgcn-amd-amdhsa--gfx906
amdhsa.version:
  - 1
  - 2
...

	.end_amdgpu_metadata
